;; amdgpu-corpus repo=zjin-lcf/HeCBench kind=compiled arch=gfx1100 opt=O3
	.text
	.amdgcn_target "amdgcn-amd-amdhsa--gfx1100"
	.amdhsa_code_object_version 6
	.protected	_Z6Match1PKfS0_PfPi     ; -- Begin function _Z6Match1PKfS0_PfPi
	.globl	_Z6Match1PKfS0_PfPi
	.p2align	8
	.type	_Z6Match1PKfS0_PfPi,@function
_Z6Match1PKfS0_PfPi:                    ; @_Z6Match1PKfS0_PfPi
; %bb.0:
	v_lshl_add_u32 v0, s15, 7, v0
	s_load_b256 s[0:7], s[0:1], 0x0
	s_mov_b32 s8, 0
	s_delay_alu instid0(VALU_DEP_1) | instskip(NEXT) | instid1(VALU_DEP_1)
	v_lshlrev_b32_e32 v1, 7, v0
	v_ashrrev_i32_e32 v2, 31, v1
	s_delay_alu instid0(VALU_DEP_1) | instskip(SKIP_2) | instid1(VALU_DEP_2)
	v_lshlrev_b64 v[3:4], 2, v[1:2]
	v_mov_b32_e32 v2, -1
	s_waitcnt lgkmcnt(0)
	v_add_co_u32 v1, vcc_lo, s0, v3
	s_delay_alu instid0(VALU_DEP_3)
	v_add_co_ci_u32_e32 v4, vcc_lo, s1, v4, vcc_lo
	v_mov_b32_e32 v3, 0
	s_set_inst_prefetch_distance 0x1
	.p2align	6
.LBB0_1:                                ; =>This Loop Header: Depth=1
                                        ;     Child Loop BB0_2 Depth 2
	v_mov_b32_e32 v5, 0
	s_mov_b64 s[0:1], 0
	.p2align	6
.LBB0_2:                                ;   Parent Loop BB0_1 Depth=1
                                        ; =>  This Inner Loop Header: Depth=2
	s_delay_alu instid0(SALU_CYCLE_1)
	v_add_co_u32 v10, vcc_lo, v1, s0
	v_add_co_ci_u32_e32 v11, vcc_lo, s1, v4, vcc_lo
	s_add_u32 s10, s2, s0
	s_addc_u32 s11, s3, s1
	s_add_u32 s0, s0, 32
	s_clause 0x1
	global_load_b128 v[6:9], v[10:11], off
	global_load_b128 v[10:13], v[10:11], off offset:16
	s_load_b256 s[12:19], s[10:11], 0x0
	s_addc_u32 s1, s1, 0
	s_cmpk_eq_i32 s0, 0x200
	s_waitcnt vmcnt(1) lgkmcnt(0)
	v_fmac_f32_e32 v5, s12, v6
	s_delay_alu instid0(VALU_DEP_1) | instskip(NEXT) | instid1(VALU_DEP_1)
	v_fmac_f32_e32 v5, s13, v7
	v_fmac_f32_e32 v5, s14, v8
	s_delay_alu instid0(VALU_DEP_1) | instskip(SKIP_1) | instid1(VALU_DEP_1)
	v_fmac_f32_e32 v5, s15, v9
	s_waitcnt vmcnt(0)
	v_fmac_f32_e32 v5, s16, v10
	s_delay_alu instid0(VALU_DEP_1) | instskip(NEXT) | instid1(VALU_DEP_1)
	v_fmac_f32_e32 v5, s17, v11
	v_fmac_f32_e32 v5, s18, v12
	s_delay_alu instid0(VALU_DEP_1)
	v_fmac_f32_e32 v5, s19, v13
	s_cbranch_scc0 .LBB0_2
; %bb.3:                                ;   in Loop: Header=BB0_1 Depth=1
	s_delay_alu instid0(VALU_DEP_1)
	v_cmp_gt_f32_e32 vcc_lo, v5, v3
	v_cndmask_b32_e32 v3, v3, v5, vcc_lo
	v_cndmask_b32_e64 v2, v2, s8, vcc_lo
	s_add_i32 s8, s8, 1
	s_add_u32 s2, s2, 0x200
	s_addc_u32 s3, s3, 0
	s_cmpk_eq_i32 s8, 0x4000
	s_cbranch_scc0 .LBB0_1
; %bb.4:
	s_set_inst_prefetch_distance 0x2
	v_ashrrev_i32_e32 v1, 31, v0
	s_delay_alu instid0(VALU_DEP_1) | instskip(NEXT) | instid1(VALU_DEP_1)
	v_lshlrev_b64 v[0:1], 2, v[0:1]
	v_add_co_u32 v4, vcc_lo, s4, v0
	s_delay_alu instid0(VALU_DEP_2)
	v_add_co_ci_u32_e32 v5, vcc_lo, s5, v1, vcc_lo
	v_add_co_u32 v0, vcc_lo, s6, v0
	v_add_co_ci_u32_e32 v1, vcc_lo, s7, v1, vcc_lo
	global_store_b32 v[4:5], v3, off
	global_store_b32 v[0:1], v2, off
	s_nop 0
	s_sendmsg sendmsg(MSG_DEALLOC_VGPRS)
	s_endpgm
	.section	.rodata,"a",@progbits
	.p2align	6, 0x0
	.amdhsa_kernel _Z6Match1PKfS0_PfPi
		.amdhsa_group_segment_fixed_size 0
		.amdhsa_private_segment_fixed_size 0
		.amdhsa_kernarg_size 32
		.amdhsa_user_sgpr_count 15
		.amdhsa_user_sgpr_dispatch_ptr 0
		.amdhsa_user_sgpr_queue_ptr 0
		.amdhsa_user_sgpr_kernarg_segment_ptr 1
		.amdhsa_user_sgpr_dispatch_id 0
		.amdhsa_user_sgpr_private_segment_size 0
		.amdhsa_wavefront_size32 1
		.amdhsa_uses_dynamic_stack 0
		.amdhsa_enable_private_segment 0
		.amdhsa_system_sgpr_workgroup_id_x 1
		.amdhsa_system_sgpr_workgroup_id_y 0
		.amdhsa_system_sgpr_workgroup_id_z 0
		.amdhsa_system_sgpr_workgroup_info 0
		.amdhsa_system_vgpr_workitem_id 0
		.amdhsa_next_free_vgpr 14
		.amdhsa_next_free_sgpr 20
		.amdhsa_reserve_vcc 1
		.amdhsa_float_round_mode_32 0
		.amdhsa_float_round_mode_16_64 0
		.amdhsa_float_denorm_mode_32 3
		.amdhsa_float_denorm_mode_16_64 3
		.amdhsa_dx10_clamp 1
		.amdhsa_ieee_mode 1
		.amdhsa_fp16_overflow 0
		.amdhsa_workgroup_processor_mode 1
		.amdhsa_memory_ordered 1
		.amdhsa_forward_progress 0
		.amdhsa_shared_vgpr_count 0
		.amdhsa_exception_fp_ieee_invalid_op 0
		.amdhsa_exception_fp_denorm_src 0
		.amdhsa_exception_fp_ieee_div_zero 0
		.amdhsa_exception_fp_ieee_overflow 0
		.amdhsa_exception_fp_ieee_underflow 0
		.amdhsa_exception_fp_ieee_inexact 0
		.amdhsa_exception_int_div_zero 0
	.end_amdhsa_kernel
	.text
.Lfunc_end0:
	.size	_Z6Match1PKfS0_PfPi, .Lfunc_end0-_Z6Match1PKfS0_PfPi
                                        ; -- End function
	.section	.AMDGPU.csdata,"",@progbits
; Kernel info:
; codeLenInByte = 328
; NumSgprs: 22
; NumVgprs: 14
; ScratchSize: 0
; MemoryBound: 0
; FloatMode: 240
; IeeeMode: 1
; LDSByteSize: 0 bytes/workgroup (compile time only)
; SGPRBlocks: 2
; VGPRBlocks: 1
; NumSGPRsForWavesPerEU: 22
; NumVGPRsForWavesPerEU: 14
; Occupancy: 16
; WaveLimiterHint : 0
; COMPUTE_PGM_RSRC2:SCRATCH_EN: 0
; COMPUTE_PGM_RSRC2:USER_SGPR: 15
; COMPUTE_PGM_RSRC2:TRAP_HANDLER: 0
; COMPUTE_PGM_RSRC2:TGID_X_EN: 1
; COMPUTE_PGM_RSRC2:TGID_Y_EN: 0
; COMPUTE_PGM_RSRC2:TGID_Z_EN: 0
; COMPUTE_PGM_RSRC2:TIDIG_COMP_CNT: 0
	.text
	.protected	_Z6Match2PKfS0_PfPi     ; -- Begin function _Z6Match2PKfS0_PfPi
	.globl	_Z6Match2PKfS0_PfPi
	.p2align	8
	.type	_Z6Match2PKfS0_PfPi,@function
_Z6Match2PKfS0_PfPi:                    ; @_Z6Match2PKfS0_PfPi
; %bb.0:
	v_bfe_u32 v5, v0, 10, 10
	v_and_b32_e32 v4, 0x3ff, v0
                                        ; implicit-def: $vgpr3
	s_delay_alu instid0(VALU_DEP_2) | instskip(NEXT) | instid1(VALU_DEP_2)
	v_cmp_lt_u32_e64 s2, 15, v5
	v_cmp_lt_u32_e64 s3, 0x7f, v4
	v_cmp_gt_u32_e32 vcc_lo, 0x80, v4
	v_lshlrev_b32_e32 v2, 7, v5
	s_delay_alu instid0(VALU_DEP_3) | instskip(NEXT) | instid1(SALU_CYCLE_1)
	s_or_b32 s2, s2, s3
	s_and_saveexec_b32 s3, s2
	s_delay_alu instid0(SALU_CYCLE_1)
	s_xor_b32 s2, exec_lo, s3
; %bb.1:
	v_lshlrev_b32_e32 v2, 7, v5
	s_delay_alu instid0(VALU_DEP_1)
	v_or_b32_e32 v3, v4, v2
; %bb.2:
	s_or_saveexec_b32 s4, s2
	s_clause 0x1
	s_load_b128 s[16:19], s[0:1], 0x8
	s_load_b64 s[10:11], s[0:1], 0x18
	s_lshl_b32 s9, s15, 4
	s_xor_b32 exec_lo, exec_lo, s4
	s_cbranch_execz .LBB1_12
; %bb.3:
	v_or_b32_e32 v0, s9, v5
	s_load_b64 s[2:3], s[0:1], 0x0
	v_or_b32_e32 v3, v2, v4
	s_mov_b32 s1, exec_lo
	s_delay_alu instid0(VALU_DEP_2) | instskip(NEXT) | instid1(VALU_DEP_1)
	v_lshlrev_b32_e32 v0, 7, v0
	v_or_b32_e32 v6, v0, v4
	s_delay_alu instid0(VALU_DEP_1) | instskip(NEXT) | instid1(VALU_DEP_1)
	v_ashrrev_i32_e32 v7, 31, v6
	v_lshlrev_b64 v[6:7], 2, v[6:7]
	s_waitcnt lgkmcnt(0)
	s_delay_alu instid0(VALU_DEP_1) | instskip(NEXT) | instid1(VALU_DEP_1)
	v_add_co_u32 v6, s0, s2, v6
	v_add_co_ci_u32_e64 v7, s0, s3, v7, s0
	global_load_b32 v1, v[6:7], off
	v_lshlrev_b32_e32 v6, 2, v3
	s_waitcnt vmcnt(0)
	ds_store_b32 v6, v1
	v_cmpx_gt_u32_e32 0x70, v4
	s_cbranch_execz .LBB1_11
; %bb.4:
	v_ashrrev_i32_e32 v1, 31, v0
	v_add_co_u32 v0, s0, v0, v4
	s_delay_alu instid0(VALU_DEP_1) | instskip(NEXT) | instid1(VALU_DEP_1)
	v_add_co_ci_u32_e64 v1, s0, 0, v1, s0
	v_lshlrev_b64 v[0:1], 2, v[0:1]
	s_delay_alu instid0(VALU_DEP_1) | instskip(NEXT) | instid1(VALU_DEP_1)
	v_add_co_u32 v0, s0, s2, v0
	v_add_co_ci_u32_e64 v1, s0, s3, v1, s0
	v_cmp_gt_u32_e64 s0, 0x60, v4
	global_load_b32 v7, v[0:1], off offset:64
	s_waitcnt vmcnt(0)
	ds_store_b32 v6, v7 offset:64
	s_and_b32 exec_lo, exec_lo, s0
	s_cbranch_execz .LBB1_11
; %bb.5:
	global_load_b32 v7, v[0:1], off offset:128
	v_cmp_gt_u32_e64 s0, 0x50, v4
	s_waitcnt vmcnt(0)
	ds_store_b32 v6, v7 offset:128
	s_and_b32 exec_lo, exec_lo, s0
	s_cbranch_execz .LBB1_11
; %bb.6:
	global_load_b32 v7, v[0:1], off offset:192
	v_cmp_gt_u32_e64 s0, 64, v4
	s_waitcnt vmcnt(0)
	ds_store_b32 v6, v7 offset:192
	s_and_b32 exec_lo, exec_lo, s0
	s_cbranch_execz .LBB1_11
; %bb.7:
	global_load_b32 v7, v[0:1], off offset:256
	v_or_b32_e32 v8, 64, v4
	s_delay_alu instid0(VALU_DEP_1)
	v_cmp_gt_u32_e64 s0, 0x70, v8
	s_waitcnt vmcnt(0)
	ds_store_b32 v6, v7 offset:256
	s_and_b32 exec_lo, exec_lo, s0
	s_cbranch_execz .LBB1_11
; %bb.8:
	global_load_b32 v7, v[0:1], off offset:320
	v_cmp_gt_u32_e64 s0, 32, v4
	s_waitcnt vmcnt(0)
	ds_store_b32 v6, v7 offset:320
	s_and_b32 exec_lo, exec_lo, s0
	s_cbranch_execz .LBB1_11
; %bb.9:
	global_load_b32 v7, v[0:1], off offset:384
	v_or_b32_e32 v8, 0x60, v4
	s_delay_alu instid0(VALU_DEP_1)
	v_cmp_gt_u32_e64 s0, 0x70, v8
	s_waitcnt vmcnt(0)
	ds_store_b32 v6, v7 offset:384
	s_and_b32 exec_lo, exec_lo, s0
	s_cbranch_execz .LBB1_11
; %bb.10:
	global_load_b32 v0, v[0:1], off offset:448
	s_waitcnt vmcnt(0)
	ds_store_b32 v6, v0 offset:448
.LBB1_11:
	s_or_b32 exec_lo, exec_lo, s1
.LBB1_12:
	s_delay_alu instid0(SALU_CYCLE_1)
	s_or_b32 exec_lo, exec_lo, s4
	v_lshl_add_u32 v0, v5, 4, v4
	v_or_b32_e32 v1, 0x60, v4
	v_cmp_eq_u32_e64 s0, 0, v5
	v_lshl_or_b32 v6, v4, 2, 0x4000
	v_lshl_add_u32 v7, v3, 2, 0x2000
	v_lshl_add_u32 v8, v0, 2, 0x4000
	v_or_b32_e32 v0, 64, v4
	v_cmp_gt_u32_e64 s1, 0x70, v4
	v_cmp_gt_u32_e64 s2, 0x60, v4
	;; [unrolled: 1-line block ×7, first 2 shown]
	v_dual_mov_b32 v1, 0 :: v_dual_mov_b32 v12, 0
	v_lshlrev_b32_e32 v9, 9, v4
	v_lshl_add_u32 v10, v2, 2, 0x2000
	v_mov_b32_e32 v11, -1
	s_mov_b32 s12, 0
	s_waitcnt lgkmcnt(0)
	s_barrier
	buffer_gl0_inv
	s_and_saveexec_b32 s13, vcc_lo
	s_cbranch_execz .LBB1_21
.LBB1_13:
	v_add_lshl_u32 v2, s12, v5, 7
	s_delay_alu instid0(VALU_DEP_1) | instskip(NEXT) | instid1(VALU_DEP_1)
	v_or_b32_e32 v0, v4, v2
	v_lshlrev_b64 v[13:14], 2, v[0:1]
	s_delay_alu instid0(VALU_DEP_1) | instskip(NEXT) | instid1(VALU_DEP_1)
	v_add_co_u32 v13, s8, s16, v13
	v_add_co_ci_u32_e64 v14, s8, s17, v14, s8
	global_load_b32 v0, v[13:14], off
	s_waitcnt vmcnt(0)
	ds_store_b32 v7, v0
	s_and_b32 exec_lo, exec_lo, s1
	s_cbranch_execz .LBB1_21
; %bb.14:
	v_add_co_u32 v2, s8, v4, v2
	s_delay_alu instid0(VALU_DEP_1) | instskip(NEXT) | instid1(VALU_DEP_1)
	v_add_co_ci_u32_e64 v3, null, 0, 0, s8
	v_lshlrev_b64 v[2:3], 2, v[2:3]
	s_delay_alu instid0(VALU_DEP_1) | instskip(NEXT) | instid1(VALU_DEP_1)
	v_add_co_u32 v2, s8, s16, v2
	v_add_co_ci_u32_e64 v3, s8, s17, v3, s8
	global_load_b32 v0, v[2:3], off offset:64
	s_waitcnt vmcnt(0)
	ds_store_b32 v7, v0 offset:64
	s_and_saveexec_b32 s8, s2
	s_delay_alu instid0(SALU_CYCLE_1)
	s_xor_b32 s8, exec_lo, s8
	s_cbranch_execz .LBB1_21
; %bb.15:
	global_load_b32 v0, v[2:3], off offset:128
	s_waitcnt vmcnt(0)
	ds_store_b32 v7, v0 offset:128
	s_and_saveexec_b32 s8, s3
	s_delay_alu instid0(SALU_CYCLE_1)
	s_xor_b32 s8, exec_lo, s8
	s_cbranch_execz .LBB1_21
; %bb.16:
	;; [unrolled: 8-line block ×6, first 2 shown]
	global_load_b32 v0, v[2:3], off offset:448
	s_waitcnt vmcnt(0)
	ds_store_b32 v7, v0 offset:448
.LBB1_21:                               ; =>This Loop Header: Depth=1
                                        ;     Child Loop BB1_22 Depth 2
	s_or_b32 exec_lo, exec_lo, s13
	v_mov_b32_e32 v0, 0
	s_mov_b32 s8, 0
	s_waitcnt lgkmcnt(0)
	s_barrier
	buffer_gl0_inv
	s_set_inst_prefetch_distance 0x1
	.p2align	6
.LBB1_22:                               ;   Parent Loop BB1_21 Depth=1
                                        ; =>  This Inner Loop Header: Depth=2
	v_add_nc_u32_e32 v2, s8, v10
	v_add_nc_u32_e32 v3, s8, v9
	s_add_i32 s8, s8, 64
	ds_load_b128 v[13:16], v2
	ds_load_b128 v[17:20], v3
	ds_load_b128 v[21:24], v3 offset:16
	ds_load_b128 v[25:28], v2 offset:16
	s_cmpk_eq_i32 s8, 0x200
	s_waitcnt lgkmcnt(2)
	v_fmac_f32_e32 v0, v17, v13
	s_delay_alu instid0(VALU_DEP_1) | instskip(NEXT) | instid1(VALU_DEP_1)
	v_fmac_f32_e32 v0, v18, v14
	v_fmac_f32_e32 v0, v19, v15
	s_delay_alu instid0(VALU_DEP_1) | instskip(SKIP_4) | instid1(VALU_DEP_1)
	v_fmac_f32_e32 v0, v20, v16
	ds_load_b128 v[13:16], v2 offset:32
	ds_load_b128 v[17:20], v3 offset:32
	s_waitcnt lgkmcnt(2)
	v_fmac_f32_e32 v0, v21, v25
	v_fmac_f32_e32 v0, v22, v26
	s_delay_alu instid0(VALU_DEP_1) | instskip(NEXT) | instid1(VALU_DEP_1)
	v_fmac_f32_e32 v0, v23, v27
	v_fmac_f32_e32 v0, v24, v28
	ds_load_b128 v[21:24], v3 offset:48
	ds_load_b128 v[25:28], v2 offset:48
	s_waitcnt lgkmcnt(2)
	v_fmac_f32_e32 v0, v17, v13
	s_delay_alu instid0(VALU_DEP_1) | instskip(NEXT) | instid1(VALU_DEP_1)
	v_fmac_f32_e32 v0, v18, v14
	v_fmac_f32_e32 v0, v19, v15
	s_delay_alu instid0(VALU_DEP_1) | instskip(SKIP_1) | instid1(VALU_DEP_1)
	v_fmac_f32_e32 v0, v20, v16
	s_waitcnt lgkmcnt(0)
	v_fmac_f32_e32 v0, v21, v25
	s_delay_alu instid0(VALU_DEP_1) | instskip(NEXT) | instid1(VALU_DEP_1)
	v_fmac_f32_e32 v0, v22, v26
	v_fmac_f32_e32 v0, v23, v27
	s_delay_alu instid0(VALU_DEP_1)
	v_fmac_f32_e32 v0, v24, v28
	s_cbranch_scc0 .LBB1_22
; %bb.23:                               ;   in Loop: Header=BB1_21 Depth=1
	s_set_inst_prefetch_distance 0x2
	ds_store_b32 v8, v0
	s_waitcnt lgkmcnt(0)
	s_barrier
	buffer_gl0_inv
	s_and_saveexec_b32 s13, s0
	s_cbranch_execz .LBB1_25
; %bb.24:                               ;   in Loop: Header=BB1_21 Depth=1
	ds_load_2addr_b32 v[2:3], v6 offset1:16
	ds_load_2addr_b32 v[13:14], v6 offset0:32 offset1:48
	s_or_b32 s14, s12, 1
	ds_load_2addr_b32 v[15:16], v6 offset0:64 offset1:80
	s_waitcnt lgkmcnt(2)
	v_cmp_gt_f32_e64 s8, v2, v12
	s_delay_alu instid0(VALU_DEP_1) | instskip(SKIP_1) | instid1(VALU_DEP_2)
	v_cndmask_b32_e64 v0, v12, v2, s8
	v_cndmask_b32_e64 v2, v11, s12, s8
	v_cmp_gt_f32_e64 s8, v3, v0
	s_delay_alu instid0(VALU_DEP_1) | instskip(NEXT) | instid1(VALU_DEP_3)
	v_cndmask_b32_e64 v0, v0, v3, s8
	v_cndmask_b32_e64 v11, v2, s14, s8
	s_or_b32 s14, s12, 2
	ds_load_2addr_b32 v[2:3], v6 offset0:96 offset1:112
	s_waitcnt lgkmcnt(2)
	v_cmp_gt_f32_e64 s8, v13, v0
	s_delay_alu instid0(VALU_DEP_1) | instskip(SKIP_2) | instid1(VALU_DEP_2)
	v_cndmask_b32_e64 v0, v0, v13, s8
	v_cndmask_b32_e64 v11, v11, s14, s8
	s_or_b32 s14, s12, 3
	v_cmp_gt_f32_e64 s8, v14, v0
	s_delay_alu instid0(VALU_DEP_1) | instskip(NEXT) | instid1(VALU_DEP_3)
	v_cndmask_b32_e64 v0, v0, v14, s8
	v_cndmask_b32_e64 v13, v11, s14, s8
	s_or_b32 s14, s12, 4
	ds_load_2addr_b32 v[11:12], v6 offset0:128 offset1:144
	s_waitcnt lgkmcnt(2)
	v_cmp_gt_f32_e64 s8, v15, v0
	s_delay_alu instid0(VALU_DEP_1) | instskip(SKIP_2) | instid1(VALU_DEP_2)
	v_cndmask_b32_e64 v0, v0, v15, s8
	v_cndmask_b32_e64 v13, v13, s14, s8
	s_or_b32 s14, s12, 5
	;; [unrolled: 12-line block ×5, first 2 shown]
	v_cmp_gt_f32_e64 s8, v14, v0
	s_delay_alu instid0(VALU_DEP_1) | instskip(NEXT) | instid1(VALU_DEP_3)
	v_cndmask_b32_e64 v0, v0, v14, s8
	v_cndmask_b32_e64 v13, v13, s14, s8
	s_or_b32 s14, s12, 12
	s_waitcnt lgkmcnt(1)
	s_delay_alu instid0(VALU_DEP_2) | instskip(NEXT) | instid1(VALU_DEP_1)
	v_cmp_gt_f32_e64 s8, v2, v0
	v_cndmask_b32_e64 v0, v0, v2, s8
	v_cndmask_b32_e64 v2, v13, s14, s8
	s_or_b32 s14, s12, 13
	s_delay_alu instid0(VALU_DEP_2) | instskip(NEXT) | instid1(VALU_DEP_1)
	v_cmp_gt_f32_e64 s8, v3, v0
	v_cndmask_b32_e64 v0, v0, v3, s8
	s_delay_alu instid0(VALU_DEP_3) | instskip(SKIP_2) | instid1(VALU_DEP_2)
	v_cndmask_b32_e64 v2, v2, s14, s8
	s_or_b32 s14, s12, 14
	s_waitcnt lgkmcnt(0)
	v_cmp_gt_f32_e64 s8, v11, v0
	s_delay_alu instid0(VALU_DEP_1) | instskip(SKIP_2) | instid1(VALU_DEP_2)
	v_cndmask_b32_e64 v0, v0, v11, s8
	v_cndmask_b32_e64 v2, v2, s14, s8
	s_or_b32 s14, s12, 15
	v_cmp_gt_f32_e64 s8, v12, v0
	s_delay_alu instid0(VALU_DEP_1) | instskip(NEXT) | instid1(VALU_DEP_3)
	v_cndmask_b32_e64 v12, v0, v12, s8
	v_cndmask_b32_e64 v11, v2, s14, s8
.LBB1_25:                               ;   in Loop: Header=BB1_21 Depth=1
	s_or_b32 exec_lo, exec_lo, s13
	s_add_i32 s8, s12, 16
	s_cmpk_gt_u32 s12, 0x3fef
	s_barrier
	buffer_gl0_inv
	s_cbranch_scc1 .LBB1_27
; %bb.26:                               ;   in Loop: Header=BB1_21 Depth=1
	s_mov_b32 s12, s8
	s_and_saveexec_b32 s13, vcc_lo
	s_cbranch_execnz .LBB1_13
	s_branch .LBB1_21
.LBB1_27:
	s_and_saveexec_b32 s1, s0
	s_cbranch_execz .LBB1_29
; %bb.28:
	v_add_nc_u32_e32 v0, s9, v4
	s_delay_alu instid0(VALU_DEP_1) | instskip(NEXT) | instid1(VALU_DEP_1)
	v_ashrrev_i32_e32 v1, 31, v0
	v_lshlrev_b64 v[0:1], 2, v[0:1]
	s_delay_alu instid0(VALU_DEP_1) | instskip(NEXT) | instid1(VALU_DEP_2)
	v_add_co_u32 v2, vcc_lo, s18, v0
	v_add_co_ci_u32_e32 v3, vcc_lo, s19, v1, vcc_lo
	v_add_co_u32 v0, vcc_lo, s10, v0
	v_add_co_ci_u32_e32 v1, vcc_lo, s11, v1, vcc_lo
	global_store_b32 v[2:3], v12, off
	global_store_b32 v[0:1], v11, off
.LBB1_29:
	s_nop 0
	s_sendmsg sendmsg(MSG_DEALLOC_VGPRS)
	s_endpgm
	.section	.rodata,"a",@progbits
	.p2align	6, 0x0
	.amdhsa_kernel _Z6Match2PKfS0_PfPi
		.amdhsa_group_segment_fixed_size 17408
		.amdhsa_private_segment_fixed_size 0
		.amdhsa_kernarg_size 32
		.amdhsa_user_sgpr_count 15
		.amdhsa_user_sgpr_dispatch_ptr 0
		.amdhsa_user_sgpr_queue_ptr 0
		.amdhsa_user_sgpr_kernarg_segment_ptr 1
		.amdhsa_user_sgpr_dispatch_id 0
		.amdhsa_user_sgpr_private_segment_size 0
		.amdhsa_wavefront_size32 1
		.amdhsa_uses_dynamic_stack 0
		.amdhsa_enable_private_segment 0
		.amdhsa_system_sgpr_workgroup_id_x 1
		.amdhsa_system_sgpr_workgroup_id_y 0
		.amdhsa_system_sgpr_workgroup_id_z 0
		.amdhsa_system_sgpr_workgroup_info 0
		.amdhsa_system_vgpr_workitem_id 1
		.amdhsa_next_free_vgpr 29
		.amdhsa_next_free_sgpr 20
		.amdhsa_reserve_vcc 1
		.amdhsa_float_round_mode_32 0
		.amdhsa_float_round_mode_16_64 0
		.amdhsa_float_denorm_mode_32 3
		.amdhsa_float_denorm_mode_16_64 3
		.amdhsa_dx10_clamp 1
		.amdhsa_ieee_mode 1
		.amdhsa_fp16_overflow 0
		.amdhsa_workgroup_processor_mode 1
		.amdhsa_memory_ordered 1
		.amdhsa_forward_progress 0
		.amdhsa_shared_vgpr_count 0
		.amdhsa_exception_fp_ieee_invalid_op 0
		.amdhsa_exception_fp_denorm_src 0
		.amdhsa_exception_fp_ieee_div_zero 0
		.amdhsa_exception_fp_ieee_overflow 0
		.amdhsa_exception_fp_ieee_underflow 0
		.amdhsa_exception_fp_ieee_inexact 0
		.amdhsa_exception_int_div_zero 0
	.end_amdhsa_kernel
	.text
.Lfunc_end1:
	.size	_Z6Match2PKfS0_PfPi, .Lfunc_end1-_Z6Match2PKfS0_PfPi
                                        ; -- End function
	.section	.AMDGPU.csdata,"",@progbits
; Kernel info:
; codeLenInByte = 2112
; NumSgprs: 22
; NumVgprs: 29
; ScratchSize: 0
; MemoryBound: 0
; FloatMode: 240
; IeeeMode: 1
; LDSByteSize: 17408 bytes/workgroup (compile time only)
; SGPRBlocks: 2
; VGPRBlocks: 3
; NumSGPRsForWavesPerEU: 22
; NumVGPRsForWavesPerEU: 29
; Occupancy: 16
; WaveLimiterHint : 0
; COMPUTE_PGM_RSRC2:SCRATCH_EN: 0
; COMPUTE_PGM_RSRC2:USER_SGPR: 15
; COMPUTE_PGM_RSRC2:TRAP_HANDLER: 0
; COMPUTE_PGM_RSRC2:TGID_X_EN: 1
; COMPUTE_PGM_RSRC2:TGID_Y_EN: 0
; COMPUTE_PGM_RSRC2:TGID_Z_EN: 0
; COMPUTE_PGM_RSRC2:TIDIG_COMP_CNT: 1
	.text
	.protected	_Z6Match3PKfS0_PfPi     ; -- Begin function _Z6Match3PKfS0_PfPi
	.globl	_Z6Match3PKfS0_PfPi
	.p2align	8
	.type	_Z6Match3PKfS0_PfPi,@function
_Z6Match3PKfS0_PfPi:                    ; @_Z6Match3PKfS0_PfPi
; %bb.0:
	s_clause 0x1
	s_load_b128 s[16:19], s[0:1], 0x8
	s_load_b64 s[10:11], s[0:1], 0x18
	v_bfe_u32 v5, v0, 10, 10
	v_and_b32_e32 v4, 0x3ff, v0
	s_lshl_b32 s9, s15, 4
	s_delay_alu instid0(VALU_DEP_2) | instskip(NEXT) | instid1(VALU_DEP_2)
	v_cmp_gt_u32_e64 s2, 16, v5
	v_cmp_gt_u32_e32 vcc_lo, 0x80, v4
	v_lshl_add_u32 v2, v5, 4, v4
	s_delay_alu instid0(VALU_DEP_3) | instskip(NEXT) | instid1(SALU_CYCLE_1)
	s_and_b32 s2, s2, vcc_lo
	s_and_saveexec_b32 s4, s2
	s_cbranch_execz .LBB2_9
; %bb.1:
	v_or_b32_e32 v0, s9, v5
	s_load_b64 s[2:3], s[0:1], 0x0
	v_mul_u32_u24_e32 v3, 0x71, v5
	s_delay_alu instid0(VALU_DEP_2) | instskip(NEXT) | instid1(VALU_DEP_2)
	v_lshlrev_b32_e32 v0, 7, v0
	v_add_lshl_u32 v3, v2, v3, 2
	s_delay_alu instid0(VALU_DEP_2) | instskip(NEXT) | instid1(VALU_DEP_1)
	v_or_b32_e32 v6, v0, v4
	v_ashrrev_i32_e32 v7, 31, v6
	s_delay_alu instid0(VALU_DEP_1) | instskip(SKIP_1) | instid1(VALU_DEP_1)
	v_lshlrev_b64 v[6:7], 2, v[6:7]
	s_waitcnt lgkmcnt(0)
	v_add_co_u32 v6, s0, s2, v6
	s_delay_alu instid0(VALU_DEP_1)
	v_add_co_ci_u32_e64 v7, s0, s3, v7, s0
	v_cmp_gt_u32_e64 s0, 0x70, v4
	global_load_b32 v1, v[6:7], off
	s_waitcnt vmcnt(0)
	ds_store_b32 v3, v1
	s_and_b32 exec_lo, exec_lo, s0
	s_cbranch_execz .LBB2_9
; %bb.2:
	v_ashrrev_i32_e32 v1, 31, v0
	v_add_co_u32 v0, s0, v0, v4
	s_delay_alu instid0(VALU_DEP_1) | instskip(NEXT) | instid1(VALU_DEP_1)
	v_add_co_ci_u32_e64 v1, s0, 0, v1, s0
	v_lshlrev_b64 v[0:1], 2, v[0:1]
	s_delay_alu instid0(VALU_DEP_1) | instskip(NEXT) | instid1(VALU_DEP_1)
	v_add_co_u32 v0, s0, s2, v0
	v_add_co_ci_u32_e64 v1, s0, s3, v1, s0
	v_cmp_gt_u32_e64 s0, 0x60, v4
	global_load_b32 v6, v[0:1], off offset:64
	s_waitcnt vmcnt(0)
	ds_store_b32 v3, v6 offset:64
	s_and_b32 exec_lo, exec_lo, s0
	s_cbranch_execz .LBB2_9
; %bb.3:
	global_load_b32 v6, v[0:1], off offset:128
	v_cmp_gt_u32_e64 s0, 0x50, v4
	s_waitcnt vmcnt(0)
	ds_store_b32 v3, v6 offset:128
	s_and_b32 exec_lo, exec_lo, s0
	s_cbranch_execz .LBB2_9
; %bb.4:
	global_load_b32 v6, v[0:1], off offset:192
	v_cmp_gt_u32_e64 s0, 64, v4
	s_waitcnt vmcnt(0)
	ds_store_b32 v3, v6 offset:192
	s_and_b32 exec_lo, exec_lo, s0
	s_cbranch_execz .LBB2_9
; %bb.5:
	global_load_b32 v6, v[0:1], off offset:256
	v_or_b32_e32 v7, 64, v4
	s_delay_alu instid0(VALU_DEP_1)
	v_cmp_gt_u32_e64 s0, 0x70, v7
	s_waitcnt vmcnt(0)
	ds_store_b32 v3, v6 offset:256
	s_and_b32 exec_lo, exec_lo, s0
	s_cbranch_execz .LBB2_9
; %bb.6:
	global_load_b32 v6, v[0:1], off offset:320
	v_cmp_gt_u32_e64 s0, 32, v4
	s_waitcnt vmcnt(0)
	ds_store_b32 v3, v6 offset:320
	s_and_b32 exec_lo, exec_lo, s0
	s_cbranch_execz .LBB2_9
; %bb.7:
	global_load_b32 v6, v[0:1], off offset:384
	v_or_b32_e32 v7, 0x60, v4
	s_delay_alu instid0(VALU_DEP_1)
	v_cmp_gt_u32_e64 s0, 0x70, v7
	s_waitcnt vmcnt(0)
	ds_store_b32 v3, v6 offset:384
	s_and_b32 exec_lo, exec_lo, s0
	s_cbranch_execz .LBB2_9
; %bb.8:
	global_load_b32 v0, v[0:1], off offset:448
	s_waitcnt vmcnt(0)
	ds_store_b32 v3, v0 offset:448
.LBB2_9:
	s_or_b32 exec_lo, exec_lo, s4
	v_lshlrev_b32_e32 v0, 2, v4
	v_dual_mov_b32 v12, 0 :: v_dual_lshlrev_b32 v3, 9, v5
	v_mul_u32_u24_e32 v9, 0x81, v4
	v_lshl_add_u32 v6, v2, 2, 0x4040
	v_or_b32_e32 v2, 64, v4
	s_delay_alu instid0(VALU_DEP_4)
	v_or_b32_e32 v1, v3, v0
	v_cmp_eq_u32_e64 s0, 0, v5
	v_cmp_gt_u32_e64 s1, 0x70, v4
	v_cmp_gt_u32_e64 s2, 0x60, v4
	;; [unrolled: 1-line block ×3, first 2 shown]
	v_dual_mov_b32 v11, -1 :: v_dual_add_nc_u32 v8, 0x2040, v1
	v_mov_b32_e32 v1, 0
	v_add_nc_u32_e32 v7, 0x4040, v0
	v_or_b32_e32 v0, 0x60, v4
	v_cmp_gt_u32_e64 s4, 64, v4
	v_cmp_gt_u32_e64 s5, 0x70, v2
	;; [unrolled: 1-line block ×3, first 2 shown]
	v_lshlrev_b32_e32 v9, 2, v9
	v_cmp_gt_u32_e64 s7, 0x70, v0
	v_add_nc_u32_e32 v10, 0x2040, v3
	s_mov_b32 s12, 0
	s_waitcnt lgkmcnt(0)
	s_barrier
	buffer_gl0_inv
	s_and_saveexec_b32 s13, vcc_lo
	s_cbranch_execz .LBB2_18
.LBB2_10:
	v_add_lshl_u32 v2, s12, v5, 7
	s_delay_alu instid0(VALU_DEP_1) | instskip(NEXT) | instid1(VALU_DEP_1)
	v_or_b32_e32 v0, v4, v2
	v_lshlrev_b64 v[13:14], 2, v[0:1]
	s_delay_alu instid0(VALU_DEP_1) | instskip(NEXT) | instid1(VALU_DEP_1)
	v_add_co_u32 v13, s8, s16, v13
	v_add_co_ci_u32_e64 v14, s8, s17, v14, s8
	global_load_b32 v0, v[13:14], off
	s_waitcnt vmcnt(0)
	ds_store_b32 v8, v0
	s_and_b32 exec_lo, exec_lo, s1
	s_cbranch_execz .LBB2_18
; %bb.11:
	v_add_co_u32 v2, s8, v4, v2
	s_delay_alu instid0(VALU_DEP_1) | instskip(NEXT) | instid1(VALU_DEP_1)
	v_add_co_ci_u32_e64 v3, null, 0, 0, s8
	v_lshlrev_b64 v[2:3], 2, v[2:3]
	s_delay_alu instid0(VALU_DEP_1) | instskip(NEXT) | instid1(VALU_DEP_1)
	v_add_co_u32 v2, s8, s16, v2
	v_add_co_ci_u32_e64 v3, s8, s17, v3, s8
	global_load_b32 v0, v[2:3], off offset:64
	s_waitcnt vmcnt(0)
	ds_store_b32 v8, v0 offset:64
	s_and_saveexec_b32 s8, s2
	s_delay_alu instid0(SALU_CYCLE_1)
	s_xor_b32 s8, exec_lo, s8
	s_cbranch_execz .LBB2_18
; %bb.12:
	global_load_b32 v0, v[2:3], off offset:128
	s_waitcnt vmcnt(0)
	ds_store_b32 v8, v0 offset:128
	s_and_saveexec_b32 s8, s3
	s_delay_alu instid0(SALU_CYCLE_1)
	s_xor_b32 s8, exec_lo, s8
	s_cbranch_execz .LBB2_18
; %bb.13:
	;; [unrolled: 8-line block ×6, first 2 shown]
	global_load_b32 v0, v[2:3], off offset:448
	s_waitcnt vmcnt(0)
	ds_store_b32 v8, v0 offset:448
.LBB2_18:                               ; =>This Loop Header: Depth=1
                                        ;     Child Loop BB2_19 Depth 2
	s_or_b32 exec_lo, exec_lo, s13
	v_mov_b32_e32 v0, 0
	s_mov_b32 s8, 0
	s_waitcnt lgkmcnt(0)
	s_barrier
	buffer_gl0_inv
	s_set_inst_prefetch_distance 0x1
	.p2align	6
.LBB2_19:                               ;   Parent Loop BB2_18 Depth=1
                                        ; =>  This Inner Loop Header: Depth=2
	v_add_nc_u32_e32 v27, s8, v10
	v_add_nc_u32_e32 v28, s8, v9
	s_add_i32 s8, s8, 64
	ds_load_b128 v[13:16], v27
	ds_load_2addr_b32 v[2:3], v28 offset1:1
	ds_load_2addr_b32 v[21:22], v28 offset0:2 offset1:3
	ds_load_b128 v[17:20], v27 offset:16
	ds_load_2addr_b32 v[23:24], v28 offset0:4 offset1:5
	ds_load_2addr_b32 v[25:26], v28 offset0:6 offset1:7
	s_cmpk_eq_i32 s8, 0x200
	s_waitcnt lgkmcnt(4)
	v_fmac_f32_e32 v0, v2, v13
	s_delay_alu instid0(VALU_DEP_1) | instskip(SKIP_1) | instid1(VALU_DEP_1)
	v_fmac_f32_e32 v0, v3, v14
	s_waitcnt lgkmcnt(3)
	v_fmac_f32_e32 v0, v21, v15
	s_delay_alu instid0(VALU_DEP_1)
	v_fmac_f32_e32 v0, v22, v16
	ds_load_b128 v[13:16], v27 offset:32
	ds_load_2addr_b32 v[2:3], v28 offset0:8 offset1:9
	ds_load_2addr_b32 v[21:22], v28 offset0:10 offset1:11
	s_waitcnt lgkmcnt(4)
	v_fmac_f32_e32 v0, v23, v17
	s_delay_alu instid0(VALU_DEP_1) | instskip(SKIP_1) | instid1(VALU_DEP_1)
	v_fmac_f32_e32 v0, v24, v18
	s_waitcnt lgkmcnt(3)
	v_fmac_f32_e32 v0, v25, v19
	s_delay_alu instid0(VALU_DEP_1)
	v_fmac_f32_e32 v0, v26, v20
	ds_load_b128 v[17:20], v27 offset:48
	ds_load_2addr_b32 v[23:24], v28 offset0:12 offset1:13
	ds_load_2addr_b32 v[25:26], v28 offset0:14 offset1:15
	s_waitcnt lgkmcnt(4)
	v_fmac_f32_e32 v0, v2, v13
	s_delay_alu instid0(VALU_DEP_1) | instskip(SKIP_1) | instid1(VALU_DEP_1)
	v_fmac_f32_e32 v0, v3, v14
	s_waitcnt lgkmcnt(3)
	v_fmac_f32_e32 v0, v21, v15
	s_delay_alu instid0(VALU_DEP_1) | instskip(SKIP_1) | instid1(VALU_DEP_1)
	v_fmac_f32_e32 v0, v22, v16
	;; [unrolled: 4-line block ×3, first 2 shown]
	s_waitcnt lgkmcnt(0)
	v_fmac_f32_e32 v0, v25, v19
	s_delay_alu instid0(VALU_DEP_1)
	v_fmac_f32_e32 v0, v26, v20
	s_cbranch_scc0 .LBB2_19
; %bb.20:                               ;   in Loop: Header=BB2_18 Depth=1
	s_set_inst_prefetch_distance 0x2
	ds_store_b32 v6, v0
	s_waitcnt lgkmcnt(0)
	s_barrier
	buffer_gl0_inv
	s_and_saveexec_b32 s13, s0
	s_cbranch_execz .LBB2_22
; %bb.21:                               ;   in Loop: Header=BB2_18 Depth=1
	ds_load_2addr_b32 v[2:3], v7 offset1:16
	ds_load_2addr_b32 v[13:14], v7 offset0:32 offset1:48
	s_or_b32 s14, s12, 1
	ds_load_2addr_b32 v[15:16], v7 offset0:64 offset1:80
	s_waitcnt lgkmcnt(2)
	v_cmp_gt_f32_e64 s8, v2, v12
	s_delay_alu instid0(VALU_DEP_1) | instskip(SKIP_1) | instid1(VALU_DEP_2)
	v_cndmask_b32_e64 v0, v12, v2, s8
	v_cndmask_b32_e64 v2, v11, s12, s8
	v_cmp_gt_f32_e64 s8, v3, v0
	s_delay_alu instid0(VALU_DEP_1) | instskip(NEXT) | instid1(VALU_DEP_3)
	v_cndmask_b32_e64 v0, v0, v3, s8
	v_cndmask_b32_e64 v11, v2, s14, s8
	s_or_b32 s14, s12, 2
	ds_load_2addr_b32 v[2:3], v7 offset0:96 offset1:112
	s_waitcnt lgkmcnt(2)
	v_cmp_gt_f32_e64 s8, v13, v0
	s_delay_alu instid0(VALU_DEP_1) | instskip(SKIP_2) | instid1(VALU_DEP_2)
	v_cndmask_b32_e64 v0, v0, v13, s8
	v_cndmask_b32_e64 v11, v11, s14, s8
	s_or_b32 s14, s12, 3
	v_cmp_gt_f32_e64 s8, v14, v0
	s_delay_alu instid0(VALU_DEP_1) | instskip(NEXT) | instid1(VALU_DEP_3)
	v_cndmask_b32_e64 v0, v0, v14, s8
	v_cndmask_b32_e64 v13, v11, s14, s8
	s_or_b32 s14, s12, 4
	ds_load_2addr_b32 v[11:12], v7 offset0:128 offset1:144
	s_waitcnt lgkmcnt(2)
	v_cmp_gt_f32_e64 s8, v15, v0
	s_delay_alu instid0(VALU_DEP_1) | instskip(SKIP_2) | instid1(VALU_DEP_2)
	v_cndmask_b32_e64 v0, v0, v15, s8
	v_cndmask_b32_e64 v13, v13, s14, s8
	s_or_b32 s14, s12, 5
	;; [unrolled: 12-line block ×5, first 2 shown]
	v_cmp_gt_f32_e64 s8, v14, v0
	s_delay_alu instid0(VALU_DEP_1) | instskip(NEXT) | instid1(VALU_DEP_3)
	v_cndmask_b32_e64 v0, v0, v14, s8
	v_cndmask_b32_e64 v13, v13, s14, s8
	s_or_b32 s14, s12, 12
	s_waitcnt lgkmcnt(1)
	s_delay_alu instid0(VALU_DEP_2) | instskip(NEXT) | instid1(VALU_DEP_1)
	v_cmp_gt_f32_e64 s8, v2, v0
	v_cndmask_b32_e64 v0, v0, v2, s8
	v_cndmask_b32_e64 v2, v13, s14, s8
	s_or_b32 s14, s12, 13
	s_delay_alu instid0(VALU_DEP_2) | instskip(NEXT) | instid1(VALU_DEP_1)
	v_cmp_gt_f32_e64 s8, v3, v0
	v_cndmask_b32_e64 v0, v0, v3, s8
	s_delay_alu instid0(VALU_DEP_3) | instskip(SKIP_2) | instid1(VALU_DEP_2)
	v_cndmask_b32_e64 v2, v2, s14, s8
	s_or_b32 s14, s12, 14
	s_waitcnt lgkmcnt(0)
	v_cmp_gt_f32_e64 s8, v11, v0
	s_delay_alu instid0(VALU_DEP_1) | instskip(SKIP_2) | instid1(VALU_DEP_2)
	v_cndmask_b32_e64 v0, v0, v11, s8
	v_cndmask_b32_e64 v2, v2, s14, s8
	s_or_b32 s14, s12, 15
	v_cmp_gt_f32_e64 s8, v12, v0
	s_delay_alu instid0(VALU_DEP_1) | instskip(NEXT) | instid1(VALU_DEP_3)
	v_cndmask_b32_e64 v12, v0, v12, s8
	v_cndmask_b32_e64 v11, v2, s14, s8
.LBB2_22:                               ;   in Loop: Header=BB2_18 Depth=1
	s_or_b32 exec_lo, exec_lo, s13
	s_add_i32 s8, s12, 16
	s_cmpk_gt_u32 s12, 0x3fef
	s_barrier
	buffer_gl0_inv
	s_cbranch_scc1 .LBB2_24
; %bb.23:                               ;   in Loop: Header=BB2_18 Depth=1
	s_mov_b32 s12, s8
	s_and_saveexec_b32 s13, vcc_lo
	s_cbranch_execnz .LBB2_10
	s_branch .LBB2_18
.LBB2_24:
	s_and_saveexec_b32 s1, s0
	s_cbranch_execz .LBB2_26
; %bb.25:
	v_add_nc_u32_e32 v0, s9, v4
	s_delay_alu instid0(VALU_DEP_1) | instskip(NEXT) | instid1(VALU_DEP_1)
	v_ashrrev_i32_e32 v1, 31, v0
	v_lshlrev_b64 v[0:1], 2, v[0:1]
	s_delay_alu instid0(VALU_DEP_1) | instskip(NEXT) | instid1(VALU_DEP_2)
	v_add_co_u32 v2, vcc_lo, s18, v0
	v_add_co_ci_u32_e32 v3, vcc_lo, s19, v1, vcc_lo
	v_add_co_u32 v0, vcc_lo, s10, v0
	v_add_co_ci_u32_e32 v1, vcc_lo, s11, v1, vcc_lo
	global_store_b32 v[2:3], v12, off
	global_store_b32 v[0:1], v11, off
.LBB2_26:
	s_nop 0
	s_sendmsg sendmsg(MSG_DEALLOC_VGPRS)
	s_endpgm
	.section	.rodata,"a",@progbits
	.p2align	6, 0x0
	.amdhsa_kernel _Z6Match3PKfS0_PfPi
		.amdhsa_group_segment_fixed_size 17472
		.amdhsa_private_segment_fixed_size 0
		.amdhsa_kernarg_size 32
		.amdhsa_user_sgpr_count 15
		.amdhsa_user_sgpr_dispatch_ptr 0
		.amdhsa_user_sgpr_queue_ptr 0
		.amdhsa_user_sgpr_kernarg_segment_ptr 1
		.amdhsa_user_sgpr_dispatch_id 0
		.amdhsa_user_sgpr_private_segment_size 0
		.amdhsa_wavefront_size32 1
		.amdhsa_uses_dynamic_stack 0
		.amdhsa_enable_private_segment 0
		.amdhsa_system_sgpr_workgroup_id_x 1
		.amdhsa_system_sgpr_workgroup_id_y 0
		.amdhsa_system_sgpr_workgroup_id_z 0
		.amdhsa_system_sgpr_workgroup_info 0
		.amdhsa_system_vgpr_workitem_id 1
		.amdhsa_next_free_vgpr 29
		.amdhsa_next_free_sgpr 20
		.amdhsa_reserve_vcc 1
		.amdhsa_float_round_mode_32 0
		.amdhsa_float_round_mode_16_64 0
		.amdhsa_float_denorm_mode_32 3
		.amdhsa_float_denorm_mode_16_64 3
		.amdhsa_dx10_clamp 1
		.amdhsa_ieee_mode 1
		.amdhsa_fp16_overflow 0
		.amdhsa_workgroup_processor_mode 1
		.amdhsa_memory_ordered 1
		.amdhsa_forward_progress 0
		.amdhsa_shared_vgpr_count 0
		.amdhsa_exception_fp_ieee_invalid_op 0
		.amdhsa_exception_fp_denorm_src 0
		.amdhsa_exception_fp_ieee_div_zero 0
		.amdhsa_exception_fp_ieee_overflow 0
		.amdhsa_exception_fp_ieee_underflow 0
		.amdhsa_exception_fp_ieee_inexact 0
		.amdhsa_exception_int_div_zero 0
	.end_amdhsa_kernel
	.text
.Lfunc_end2:
	.size	_Z6Match3PKfS0_PfPi, .Lfunc_end2-_Z6Match3PKfS0_PfPi
                                        ; -- End function
	.section	.AMDGPU.csdata,"",@progbits
; Kernel info:
; codeLenInByte = 2140
; NumSgprs: 22
; NumVgprs: 29
; ScratchSize: 0
; MemoryBound: 0
; FloatMode: 240
; IeeeMode: 1
; LDSByteSize: 17472 bytes/workgroup (compile time only)
; SGPRBlocks: 2
; VGPRBlocks: 3
; NumSGPRsForWavesPerEU: 22
; NumVGPRsForWavesPerEU: 29
; Occupancy: 16
; WaveLimiterHint : 0
; COMPUTE_PGM_RSRC2:SCRATCH_EN: 0
; COMPUTE_PGM_RSRC2:USER_SGPR: 15
; COMPUTE_PGM_RSRC2:TRAP_HANDLER: 0
; COMPUTE_PGM_RSRC2:TGID_X_EN: 1
; COMPUTE_PGM_RSRC2:TGID_Y_EN: 0
; COMPUTE_PGM_RSRC2:TGID_Z_EN: 0
; COMPUTE_PGM_RSRC2:TIDIG_COMP_CNT: 1
	.text
	.protected	_Z6Match4PKfS0_PfPi     ; -- Begin function _Z6Match4PKfS0_PfPi
	.globl	_Z6Match4PKfS0_PfPi
	.p2align	8
	.type	_Z6Match4PKfS0_PfPi,@function
_Z6Match4PKfS0_PfPi:                    ; @_Z6Match4PKfS0_PfPi
; %bb.0:
	s_clause 0x1
	s_load_b128 s[4:7], s[0:1], 0x8
	s_load_b64 s[8:9], s[0:1], 0x18
	v_bfe_u32 v1, v0, 10, 10
	v_and_b32_e32 v4, 0x3ff, v0
	s_lshl_b32 s10, s15, 4
	s_delay_alu instid0(VALU_DEP_2) | instskip(NEXT) | instid1(VALU_DEP_2)
	v_cmp_gt_u32_e64 s2, 16, v1
	v_cmp_gt_u32_e32 vcc_lo, 32, v4
	s_delay_alu instid0(VALU_DEP_2) | instskip(NEXT) | instid1(SALU_CYCLE_1)
	s_and_b32 s2, s2, vcc_lo
	s_and_saveexec_b32 s11, s2
	s_cbranch_execz .LBB3_3
; %bb.1:
	s_load_b64 s[2:3], s[0:1], 0x0
	v_or_b32_e32 v0, s10, v1
	v_mul_u32_u24_e32 v2, 33, v1
	s_mov_b32 s1, 0
	s_delay_alu instid0(VALU_DEP_2) | instskip(NEXT) | instid1(VALU_DEP_2)
	v_dual_mov_b32 v3, v4 :: v_dual_lshlrev_b32 v0, 5, v0
	v_add_lshl_u32 v2, v2, v4, 4
	.p2align	6
.LBB3_2:                                ; =>This Inner Loop Header: Depth=1
	s_delay_alu instid0(VALU_DEP_2) | instskip(SKIP_1) | instid1(VALU_DEP_2)
	v_add_nc_u32_e32 v5, v0, v3
	v_add_nc_u32_e32 v9, 16, v3
	v_ashrrev_i32_e32 v6, 31, v5
	s_delay_alu instid0(VALU_DEP_1) | instskip(SKIP_1) | instid1(VALU_DEP_1)
	v_lshlrev_b64 v[5:6], 4, v[5:6]
	s_waitcnt lgkmcnt(0)
	v_add_co_u32 v5, s0, s2, v5
	s_delay_alu instid0(VALU_DEP_1)
	v_add_co_ci_u32_e64 v6, s0, s3, v6, s0
	v_cmp_lt_u32_e64 s0, 15, v3
	v_mov_b32_e32 v3, v9
	global_load_b128 v[5:8], v[5:6], off
	s_or_b32 s1, s0, s1
	s_waitcnt vmcnt(0)
	ds_store_b128 v2, v[5:8]
	v_add_nc_u32_e32 v2, 0x100, v2
	s_and_not1_b32 exec_lo, exec_lo, s1
	s_cbranch_execnz .LBB3_2
.LBB3_3:
	s_or_b32 exec_lo, exec_lo, s11
	v_lshl_add_u32 v0, v1, 4, v4
	v_lshlrev_b32_e32 v9, 5, v1
	v_mul_u32_u24_e32 v2, 33, v4
	v_dual_mov_b32 v12, -1 :: v_dual_lshlrev_b32 v3, 9, v1
	s_delay_alu instid0(VALU_DEP_4) | instskip(NEXT) | instid1(VALU_DEP_4)
	v_lshl_add_u32 v5, v0, 2, 0x4100
	v_add_lshl_u32 v0, v4, v9, 4
	s_delay_alu instid0(VALU_DEP_4)
	v_dual_mov_b32 v11, 0 :: v_dual_lshlrev_b32 v6, 4, v2
	v_lshlrev_b32_e32 v2, 4, v4
	v_cmp_eq_u32_e64 s0, 0, v1
	s_waitcnt lgkmcnt(0)
	v_add_co_u32 v0, s1, s4, v0
	v_add_nc_u32_e32 v7, 0x2100, v3
	v_lshl_add_u32 v8, v4, 2, 0x4100
	v_add_nc_u32_e32 v9, -16, v4
	v_add_co_ci_u32_e64 v1, null, s5, 0, s1
	v_add3_u32 v10, v3, v2, 0x2100
	s_mov_b32 s2, 0
	s_barrier
	buffer_gl0_inv
	s_and_saveexec_b32 s3, vcc_lo
	s_cbranch_execz .LBB3_6
.LBB3_4:
	v_mov_b32_e32 v3, v1
	v_dual_mov_b32 v13, v10 :: v_dual_mov_b32 v2, v0
	v_mov_b32_e32 v14, v9
	s_mov_b32 s4, 0
	.p2align	6
.LBB3_5:                                ; =>This Inner Loop Header: Depth=1
	global_load_b128 v[15:18], v[2:3], off
	v_add_co_u32 v2, s1, 0x100, v2
	v_add_co_u32 v14, s5, v14, 16
	v_add_co_ci_u32_e64 v3, s1, 0, v3, s1
	s_xor_b32 s1, s5, -1
	s_delay_alu instid0(SALU_CYCLE_1) | instskip(NEXT) | instid1(SALU_CYCLE_1)
	s_and_b32 s1, exec_lo, s1
	s_or_b32 s4, s1, s4
	s_waitcnt vmcnt(0)
	ds_store_b128 v13, v[15:18]
	v_add_nc_u32_e32 v13, 0x100, v13
	s_and_not1_b32 exec_lo, exec_lo, s4
	s_cbranch_execnz .LBB3_5
.LBB3_6:                                ; =>This Inner Loop Header: Depth=1
	s_or_b32 exec_lo, exec_lo, s3
	s_waitcnt lgkmcnt(0)
	s_barrier
	buffer_gl0_inv
	ds_load_b128 v[13:16], v7
	ds_load_b128 v[17:20], v6
	ds_load_b128 v[21:24], v6 offset:16
	ds_load_b128 v[25:28], v7 offset:16
	s_waitcnt lgkmcnt(2)
	v_fma_f32 v2, v17, v13, 0
	s_delay_alu instid0(VALU_DEP_1) | instskip(NEXT) | instid1(VALU_DEP_1)
	v_fmac_f32_e32 v2, v18, v14
	v_fmac_f32_e32 v2, v19, v15
	s_delay_alu instid0(VALU_DEP_1) | instskip(SKIP_4) | instid1(VALU_DEP_1)
	v_fmac_f32_e32 v2, v20, v16
	ds_load_b128 v[13:16], v7 offset:32
	ds_load_b128 v[17:20], v6 offset:32
	s_waitcnt lgkmcnt(2)
	v_fmac_f32_e32 v2, v21, v25
	v_fmac_f32_e32 v2, v22, v26
	s_delay_alu instid0(VALU_DEP_1) | instskip(NEXT) | instid1(VALU_DEP_1)
	v_fmac_f32_e32 v2, v23, v27
	v_fmac_f32_e32 v2, v24, v28
	ds_load_b128 v[21:24], v6 offset:48
	ds_load_b128 v[25:28], v7 offset:48
	s_waitcnt lgkmcnt(2)
	v_fmac_f32_e32 v2, v17, v13
	s_delay_alu instid0(VALU_DEP_1) | instskip(NEXT) | instid1(VALU_DEP_1)
	v_fmac_f32_e32 v2, v18, v14
	v_fmac_f32_e32 v2, v19, v15
	s_delay_alu instid0(VALU_DEP_1) | instskip(SKIP_4) | instid1(VALU_DEP_1)
	v_fmac_f32_e32 v2, v20, v16
	ds_load_b128 v[13:16], v7 offset:64
	ds_load_b128 v[17:20], v6 offset:64
	s_waitcnt lgkmcnt(2)
	v_fmac_f32_e32 v2, v21, v25
	v_fmac_f32_e32 v2, v22, v26
	s_delay_alu instid0(VALU_DEP_1) | instskip(NEXT) | instid1(VALU_DEP_1)
	v_fmac_f32_e32 v2, v23, v27
	v_fmac_f32_e32 v2, v24, v28
	ds_load_b128 v[21:24], v6 offset:80
	ds_load_b128 v[25:28], v7 offset:80
	s_waitcnt lgkmcnt(2)
	v_fmac_f32_e32 v2, v17, v13
	;; [unrolled: 17-line block ×15, first 2 shown]
	s_delay_alu instid0(VALU_DEP_1) | instskip(NEXT) | instid1(VALU_DEP_1)
	v_fmac_f32_e32 v2, v18, v14
	v_fmac_f32_e32 v2, v19, v15
	s_delay_alu instid0(VALU_DEP_1) | instskip(SKIP_1) | instid1(VALU_DEP_1)
	v_fmac_f32_e32 v2, v20, v16
	s_waitcnt lgkmcnt(0)
	v_fmac_f32_e32 v2, v21, v25
	s_delay_alu instid0(VALU_DEP_1) | instskip(NEXT) | instid1(VALU_DEP_1)
	v_fmac_f32_e32 v2, v22, v26
	v_fmac_f32_e32 v2, v23, v27
	s_delay_alu instid0(VALU_DEP_1)
	v_fmac_f32_e32 v2, v24, v28
	ds_store_b32 v5, v2
	s_waitcnt lgkmcnt(0)
	s_barrier
	buffer_gl0_inv
	s_and_saveexec_b32 s3, s0
	s_cbranch_execz .LBB3_8
; %bb.7:                                ;   in Loop: Header=BB3_6 Depth=1
	ds_load_2addr_b32 v[2:3], v8 offset1:16
	ds_load_2addr_b32 v[13:14], v8 offset0:32 offset1:48
	s_or_b32 s4, s2, 1
	s_waitcnt lgkmcnt(1)
	v_cmp_gt_f32_e64 s1, v2, v11
	s_delay_alu instid0(VALU_DEP_1) | instskip(SKIP_1) | instid1(VALU_DEP_2)
	v_cndmask_b32_e64 v2, v11, v2, s1
	v_cndmask_b32_e64 v12, v12, s2, s1
	v_cmp_gt_f32_e64 s1, v3, v2
	s_delay_alu instid0(VALU_DEP_1)
	v_cndmask_b32_e64 v11, v12, s4, s1
	v_cndmask_b32_e64 v12, v2, v3, s1
	ds_load_2addr_b32 v[2:3], v8 offset0:64 offset1:80
	s_or_b32 s4, s2, 2
	s_waitcnt lgkmcnt(1)
	v_cmp_gt_f32_e64 s1, v13, v12
	s_delay_alu instid0(VALU_DEP_1) | instskip(SKIP_2) | instid1(VALU_DEP_2)
	v_cndmask_b32_e64 v12, v12, v13, s1
	v_cndmask_b32_e64 v11, v11, s4, s1
	s_or_b32 s4, s2, 3
	v_cmp_gt_f32_e64 s1, v14, v12
	s_delay_alu instid0(VALU_DEP_1) | instskip(NEXT) | instid1(VALU_DEP_3)
	v_cndmask_b32_e64 v14, v12, v14, s1
	v_cndmask_b32_e64 v13, v11, s4, s1
	ds_load_2addr_b32 v[11:12], v8 offset0:96 offset1:112
	s_or_b32 s4, s2, 4
	s_waitcnt lgkmcnt(1)
	v_cmp_gt_f32_e64 s1, v2, v14
	s_delay_alu instid0(VALU_DEP_1) | instskip(SKIP_2) | instid1(VALU_DEP_2)
	v_cndmask_b32_e64 v2, v14, v2, s1
	v_cndmask_b32_e64 v13, v13, s4, s1
	s_or_b32 s4, s2, 5
	v_cmp_gt_f32_e64 s1, v3, v2
	s_delay_alu instid0(VALU_DEP_1) | instskip(NEXT) | instid1(VALU_DEP_3)
	;; [unrolled: 12-line block ×6, first 2 shown]
	v_cndmask_b32_e64 v2, v2, v3, s1
	v_cndmask_b32_e64 v11, v14, s4, s1
	s_or_b32 s4, s2, 14
	s_waitcnt lgkmcnt(0)
	s_delay_alu instid0(VALU_DEP_2) | instskip(NEXT) | instid1(VALU_DEP_1)
	v_cmp_gt_f32_e64 s1, v12, v2
	v_cndmask_b32_e64 v2, v2, v12, s1
	v_cndmask_b32_e64 v3, v11, s4, s1
	s_or_b32 s4, s2, 15
	s_delay_alu instid0(VALU_DEP_2) | instskip(NEXT) | instid1(VALU_DEP_1)
	v_cmp_gt_f32_e64 s1, v13, v2
	v_cndmask_b32_e64 v12, v3, s4, s1
	v_cndmask_b32_e64 v11, v2, v13, s1
.LBB3_8:                                ;   in Loop: Header=BB3_6 Depth=1
	s_or_b32 exec_lo, exec_lo, s3
	v_add_co_u32 v0, s1, 0x2000, v0
	s_delay_alu instid0(VALU_DEP_1)
	v_add_co_ci_u32_e64 v1, s1, 0, v1, s1
	s_add_i32 s1, s2, 16
	s_cmpk_gt_u32 s2, 0x3fef
	s_barrier
	buffer_gl0_inv
	s_cbranch_scc1 .LBB3_10
; %bb.9:                                ;   in Loop: Header=BB3_6 Depth=1
	s_mov_b32 s2, s1
	s_and_saveexec_b32 s3, vcc_lo
	s_cbranch_execnz .LBB3_4
	s_branch .LBB3_6
.LBB3_10:
	s_and_saveexec_b32 s1, s0
	s_cbranch_execz .LBB3_12
; %bb.11:
	v_add_nc_u32_e32 v0, s10, v4
	s_delay_alu instid0(VALU_DEP_1) | instskip(NEXT) | instid1(VALU_DEP_1)
	v_ashrrev_i32_e32 v1, 31, v0
	v_lshlrev_b64 v[0:1], 2, v[0:1]
	s_delay_alu instid0(VALU_DEP_1) | instskip(NEXT) | instid1(VALU_DEP_2)
	v_add_co_u32 v2, vcc_lo, s6, v0
	v_add_co_ci_u32_e32 v3, vcc_lo, s7, v1, vcc_lo
	v_add_co_u32 v0, vcc_lo, s8, v0
	v_add_co_ci_u32_e32 v1, vcc_lo, s9, v1, vcc_lo
	global_store_b32 v[2:3], v11, off
	global_store_b32 v[0:1], v12, off
.LBB3_12:
	s_nop 0
	s_sendmsg sendmsg(MSG_DEALLOC_VGPRS)
	s_endpgm
	.section	.rodata,"a",@progbits
	.p2align	6, 0x0
	.amdhsa_kernel _Z6Match4PKfS0_PfPi
		.amdhsa_group_segment_fixed_size 17664
		.amdhsa_private_segment_fixed_size 0
		.amdhsa_kernarg_size 32
		.amdhsa_user_sgpr_count 15
		.amdhsa_user_sgpr_dispatch_ptr 0
		.amdhsa_user_sgpr_queue_ptr 0
		.amdhsa_user_sgpr_kernarg_segment_ptr 1
		.amdhsa_user_sgpr_dispatch_id 0
		.amdhsa_user_sgpr_private_segment_size 0
		.amdhsa_wavefront_size32 1
		.amdhsa_uses_dynamic_stack 0
		.amdhsa_enable_private_segment 0
		.amdhsa_system_sgpr_workgroup_id_x 1
		.amdhsa_system_sgpr_workgroup_id_y 0
		.amdhsa_system_sgpr_workgroup_id_z 0
		.amdhsa_system_sgpr_workgroup_info 0
		.amdhsa_system_vgpr_workitem_id 1
		.amdhsa_next_free_vgpr 29
		.amdhsa_next_free_sgpr 16
		.amdhsa_reserve_vcc 1
		.amdhsa_float_round_mode_32 0
		.amdhsa_float_round_mode_16_64 0
		.amdhsa_float_denorm_mode_32 3
		.amdhsa_float_denorm_mode_16_64 3
		.amdhsa_dx10_clamp 1
		.amdhsa_ieee_mode 1
		.amdhsa_fp16_overflow 0
		.amdhsa_workgroup_processor_mode 1
		.amdhsa_memory_ordered 1
		.amdhsa_forward_progress 0
		.amdhsa_shared_vgpr_count 0
		.amdhsa_exception_fp_ieee_invalid_op 0
		.amdhsa_exception_fp_denorm_src 0
		.amdhsa_exception_fp_ieee_div_zero 0
		.amdhsa_exception_fp_ieee_overflow 0
		.amdhsa_exception_fp_ieee_underflow 0
		.amdhsa_exception_fp_ieee_inexact 0
		.amdhsa_exception_int_div_zero 0
	.end_amdhsa_kernel
	.text
.Lfunc_end3:
	.size	_Z6Match4PKfS0_PfPi, .Lfunc_end3-_Z6Match4PKfS0_PfPi
                                        ; -- End function
	.section	.AMDGPU.csdata,"",@progbits
; Kernel info:
; codeLenInByte = 2632
; NumSgprs: 18
; NumVgprs: 29
; ScratchSize: 0
; MemoryBound: 0
; FloatMode: 240
; IeeeMode: 1
; LDSByteSize: 17664 bytes/workgroup (compile time only)
; SGPRBlocks: 2
; VGPRBlocks: 3
; NumSGPRsForWavesPerEU: 18
; NumVGPRsForWavesPerEU: 29
; Occupancy: 16
; WaveLimiterHint : 0
; COMPUTE_PGM_RSRC2:SCRATCH_EN: 0
; COMPUTE_PGM_RSRC2:USER_SGPR: 15
; COMPUTE_PGM_RSRC2:TRAP_HANDLER: 0
; COMPUTE_PGM_RSRC2:TGID_X_EN: 1
; COMPUTE_PGM_RSRC2:TGID_Y_EN: 0
; COMPUTE_PGM_RSRC2:TGID_Z_EN: 0
; COMPUTE_PGM_RSRC2:TIDIG_COMP_CNT: 1
	.text
	.protected	_Z6Match5PKfS0_PfPi     ; -- Begin function _Z6Match5PKfS0_PfPi
	.globl	_Z6Match5PKfS0_PfPi
	.p2align	8
	.type	_Z6Match5PKfS0_PfPi,@function
_Z6Match5PKfS0_PfPi:                    ; @_Z6Match5PKfS0_PfPi
; %bb.0:
	s_clause 0x1
	s_load_b128 s[4:7], s[0:1], 0x8
	s_load_b64 s[8:9], s[0:1], 0x18
	v_bfe_u32 v2, v0, 10, 10
	v_and_b32_e32 v4, 0x3ff, v0
	s_lshl_b32 s10, s15, 4
	s_delay_alu instid0(VALU_DEP_2) | instskip(NEXT) | instid1(VALU_DEP_2)
	v_cmp_gt_u32_e64 s2, 16, v2
	v_cmp_gt_u32_e32 vcc_lo, 32, v4
	s_delay_alu instid0(VALU_DEP_2) | instskip(NEXT) | instid1(SALU_CYCLE_1)
	s_and_b32 s2, s2, vcc_lo
	s_and_saveexec_b32 s11, s2
	s_cbranch_execz .LBB4_3
; %bb.1:
	s_load_b64 s[2:3], s[0:1], 0x0
	v_or_b32_e32 v0, s10, v2
	v_mul_u32_u24_e32 v1, 33, v2
	s_mov_b32 s1, 0
	s_delay_alu instid0(VALU_DEP_2) | instskip(NEXT) | instid1(VALU_DEP_2)
	v_dual_mov_b32 v3, v4 :: v_dual_lshlrev_b32 v0, 5, v0
	v_add_lshl_u32 v1, v1, v4, 4
	.p2align	6
.LBB4_2:                                ; =>This Inner Loop Header: Depth=1
	s_delay_alu instid0(VALU_DEP_2) | instskip(SKIP_1) | instid1(VALU_DEP_2)
	v_add_nc_u32_e32 v5, v0, v3
	v_add_nc_u32_e32 v9, 16, v3
	v_ashrrev_i32_e32 v6, 31, v5
	s_delay_alu instid0(VALU_DEP_1) | instskip(SKIP_1) | instid1(VALU_DEP_1)
	v_lshlrev_b64 v[5:6], 4, v[5:6]
	s_waitcnt lgkmcnt(0)
	v_add_co_u32 v5, s0, s2, v5
	s_delay_alu instid0(VALU_DEP_1)
	v_add_co_ci_u32_e64 v6, s0, s3, v6, s0
	v_cmp_lt_u32_e64 s0, 15, v3
	v_mov_b32_e32 v3, v9
	global_load_b128 v[5:8], v[5:6], off
	s_or_b32 s1, s0, s1
	s_waitcnt vmcnt(0)
	ds_store_b128 v1, v[5:8]
	v_add_nc_u32_e32 v1, 0x100, v1
	s_and_not1_b32 exec_lo, exec_lo, s1
	s_cbranch_execnz .LBB4_2
.LBB4_3:
	s_or_b32 exec_lo, exec_lo, s11
	v_lshl_add_u32 v0, v2, 6, v4
	v_dual_mov_b32 v12, -1 :: v_dual_lshlrev_b32 v1, 5, v2
	v_mul_u32_u24_e32 v3, 33, v4
	v_dual_mov_b32 v11, 0 :: v_dual_lshlrev_b32 v8, 9, v2
	s_delay_alu instid0(VALU_DEP_4) | instskip(NEXT) | instid1(VALU_DEP_4)
	v_lshl_add_u32 v5, v0, 2, 0x4100
	v_add_lshl_u32 v0, v4, v1, 4
	v_lshlrev_b32_e32 v9, 4, v4
	v_cmp_gt_u32_e64 s1, 4, v2
	v_cmp_eq_u32_e64 s0, 0, v2
	v_lshl_add_u32 v6, v4, 2, 0x4100
	s_waitcnt lgkmcnt(0)
	v_add_co_u32 v0, s2, s4, v0
	v_add_nc_u32_e32 v7, -16, v4
	v_add_co_ci_u32_e64 v1, null, s5, 0, s2
	v_add3_u32 v8, v8, v9, 0x2100
	v_lshl_add_u32 v9, v2, 11, 0x2100
	v_lshlrev_b32_e32 v10, 4, v3
	s_mov_b32 s3, 0
	s_barrier
	buffer_gl0_inv
	s_and_saveexec_b32 s4, vcc_lo
	s_cbranch_execz .LBB4_6
.LBB4_4:
	v_dual_mov_b32 v13, v8 :: v_dual_mov_b32 v14, v7
	v_dual_mov_b32 v3, v1 :: v_dual_mov_b32 v2, v0
	s_mov_b32 s5, 0
	.p2align	6
.LBB4_5:                                ; =>This Inner Loop Header: Depth=1
	global_load_b128 v[15:18], v[2:3], off
	v_add_co_u32 v2, s2, 0x100, v2
	v_add_co_u32 v14, s11, v14, 16
	v_add_co_ci_u32_e64 v3, s2, 0, v3, s2
	s_xor_b32 s2, s11, -1
	s_delay_alu instid0(SALU_CYCLE_1) | instskip(NEXT) | instid1(SALU_CYCLE_1)
	s_and_b32 s2, exec_lo, s2
	s_or_b32 s5, s2, s5
	s_waitcnt vmcnt(0)
	ds_store_b128 v13, v[15:18]
	v_add_nc_u32_e32 v13, 0x100, v13
	s_and_not1_b32 exec_lo, exec_lo, s5
	s_cbranch_execnz .LBB4_5
.LBB4_6:                                ; =>This Loop Header: Depth=1
                                        ;     Child Loop BB4_8 Depth 2
	s_or_b32 exec_lo, exec_lo, s4
	s_waitcnt lgkmcnt(0)
	s_barrier
	buffer_gl0_inv
	s_and_saveexec_b32 s2, s1
	s_cbranch_execz .LBB4_10
; %bb.7:                                ;   in Loop: Header=BB4_6 Depth=1
	v_dual_mov_b32 v2, 0 :: v_dual_mov_b32 v3, 0
	v_dual_mov_b32 v13, 0 :: v_dual_mov_b32 v14, 0
	s_mov_b32 s4, 0
.LBB4_8:                                ;   Parent Loop BB4_6 Depth=1
                                        ; =>  This Inner Loop Header: Depth=2
	s_delay_alu instid0(SALU_CYCLE_1)
	v_add_nc_u32_e32 v51, s4, v9
	v_add_nc_u32_e32 v35, s4, v10
	s_add_i32 s4, s4, 32
	ds_load_b128 v[15:18], v51
	ds_load_b128 v[19:22], v35
	ds_load_b128 v[23:26], v51 offset:512
	ds_load_b128 v[27:30], v51 offset:1024
	;; [unrolled: 1-line block ×8, first 2 shown]
	s_cmpk_eq_i32 s4, 0x200
	s_waitcnt lgkmcnt(8)
	v_fmac_f32_e32 v2, v19, v15
	s_waitcnt lgkmcnt(7)
	v_fmac_f32_e32 v3, v19, v23
	;; [unrolled: 2-line block ×3, first 2 shown]
	v_dual_fmac_f32 v13, v19, v27 :: v_dual_fmac_f32 v2, v20, v16
	s_delay_alu instid0(VALU_DEP_3) | instskip(NEXT) | instid1(VALU_DEP_3)
	v_fmac_f32_e32 v3, v20, v24
	v_fmac_f32_e32 v14, v20, v32
	s_delay_alu instid0(VALU_DEP_3) | instskip(NEXT) | instid1(VALU_DEP_3)
	v_dual_fmac_f32 v13, v20, v28 :: v_dual_fmac_f32 v2, v21, v17
	v_fmac_f32_e32 v3, v21, v25
	s_delay_alu instid0(VALU_DEP_3) | instskip(NEXT) | instid1(VALU_DEP_3)
	v_fmac_f32_e32 v14, v21, v33
	v_dual_fmac_f32 v13, v21, v29 :: v_dual_fmac_f32 v2, v22, v18
	s_delay_alu instid0(VALU_DEP_3) | instskip(NEXT) | instid1(VALU_DEP_3)
	v_fmac_f32_e32 v3, v22, v26
	v_fmac_f32_e32 v14, v22, v34
	s_waitcnt lgkmcnt(3)
	s_delay_alu instid0(VALU_DEP_3)
	v_dual_fmac_f32 v13, v22, v30 :: v_dual_fmac_f32 v2, v35, v39
	s_waitcnt lgkmcnt(2)
	v_fmac_f32_e32 v3, v35, v43
	s_waitcnt lgkmcnt(0)
	v_fmac_f32_e32 v14, v35, v51
	v_dual_fmac_f32 v13, v35, v47 :: v_dual_fmac_f32 v2, v36, v40
	s_delay_alu instid0(VALU_DEP_3) | instskip(NEXT) | instid1(VALU_DEP_3)
	v_fmac_f32_e32 v3, v36, v44
	v_fmac_f32_e32 v14, v36, v52
	s_delay_alu instid0(VALU_DEP_3) | instskip(NEXT) | instid1(VALU_DEP_3)
	v_dual_fmac_f32 v13, v36, v48 :: v_dual_fmac_f32 v2, v37, v41
	v_fmac_f32_e32 v3, v37, v45
	s_delay_alu instid0(VALU_DEP_3) | instskip(NEXT) | instid1(VALU_DEP_3)
	v_fmac_f32_e32 v14, v37, v53
	v_dual_fmac_f32 v13, v37, v49 :: v_dual_fmac_f32 v2, v38, v42
	s_delay_alu instid0(VALU_DEP_3) | instskip(NEXT) | instid1(VALU_DEP_3)
	v_fmac_f32_e32 v3, v38, v46
	v_fmac_f32_e32 v14, v38, v54
	s_delay_alu instid0(VALU_DEP_3)
	v_fmac_f32_e32 v13, v38, v50
	s_cbranch_scc0 .LBB4_8
; %bb.9:                                ;   in Loop: Header=BB4_6 Depth=1
	ds_store_2addr_b32 v5, v2, v3 offset1:16
	ds_store_2addr_b32 v5, v13, v14 offset0:32 offset1:48
.LBB4_10:                               ;   in Loop: Header=BB4_6 Depth=1
	s_or_b32 exec_lo, exec_lo, s2
	s_waitcnt lgkmcnt(0)
	s_barrier
	buffer_gl0_inv
	s_and_saveexec_b32 s4, s0
	s_cbranch_execz .LBB4_12
; %bb.11:                               ;   in Loop: Header=BB4_6 Depth=1
	ds_load_2addr_b32 v[2:3], v6 offset1:16
	ds_load_2addr_b32 v[13:14], v6 offset0:32 offset1:48
	s_or_b32 s5, s3, 1
	s_waitcnt lgkmcnt(1)
	v_cmp_gt_f32_e64 s2, v2, v11
	s_delay_alu instid0(VALU_DEP_1) | instskip(SKIP_1) | instid1(VALU_DEP_2)
	v_cndmask_b32_e64 v2, v11, v2, s2
	v_cndmask_b32_e64 v12, v12, s3, s2
	v_cmp_gt_f32_e64 s2, v3, v2
	s_delay_alu instid0(VALU_DEP_1)
	v_cndmask_b32_e64 v11, v12, s5, s2
	v_cndmask_b32_e64 v12, v2, v3, s2
	ds_load_2addr_b32 v[2:3], v6 offset0:64 offset1:80
	s_or_b32 s5, s3, 2
	s_waitcnt lgkmcnt(1)
	v_cmp_gt_f32_e64 s2, v13, v12
	s_delay_alu instid0(VALU_DEP_1) | instskip(SKIP_2) | instid1(VALU_DEP_2)
	v_cndmask_b32_e64 v12, v12, v13, s2
	v_cndmask_b32_e64 v11, v11, s5, s2
	s_or_b32 s5, s3, 3
	v_cmp_gt_f32_e64 s2, v14, v12
	s_delay_alu instid0(VALU_DEP_1) | instskip(NEXT) | instid1(VALU_DEP_3)
	v_cndmask_b32_e64 v14, v12, v14, s2
	v_cndmask_b32_e64 v13, v11, s5, s2
	ds_load_2addr_b32 v[11:12], v6 offset0:96 offset1:112
	s_or_b32 s5, s3, 4
	s_waitcnt lgkmcnt(1)
	v_cmp_gt_f32_e64 s2, v2, v14
	s_delay_alu instid0(VALU_DEP_1) | instskip(SKIP_2) | instid1(VALU_DEP_2)
	v_cndmask_b32_e64 v2, v14, v2, s2
	v_cndmask_b32_e64 v13, v13, s5, s2
	s_or_b32 s5, s3, 5
	v_cmp_gt_f32_e64 s2, v3, v2
	s_delay_alu instid0(VALU_DEP_1) | instskip(NEXT) | instid1(VALU_DEP_3)
	v_cndmask_b32_e64 v14, v2, v3, s2
	v_cndmask_b32_e64 v13, v13, s5, s2
	ds_load_2addr_b32 v[2:3], v6 offset0:128 offset1:144
	s_or_b32 s5, s3, 6
	s_waitcnt lgkmcnt(1)
	v_cmp_gt_f32_e64 s2, v11, v14
	s_delay_alu instid0(VALU_DEP_1) | instskip(SKIP_2) | instid1(VALU_DEP_2)
	v_cndmask_b32_e64 v11, v14, v11, s2
	v_cndmask_b32_e64 v13, v13, s5, s2
	s_or_b32 s5, s3, 7
	v_cmp_gt_f32_e64 s2, v12, v11
	s_delay_alu instid0(VALU_DEP_1) | instskip(NEXT) | instid1(VALU_DEP_3)
	v_cndmask_b32_e64 v14, v11, v12, s2
	v_cndmask_b32_e64 v13, v13, s5, s2
	ds_load_2addr_b32 v[11:12], v6 offset0:160 offset1:176
	s_or_b32 s5, s3, 8
	s_waitcnt lgkmcnt(1)
	v_cmp_gt_f32_e64 s2, v2, v14
	s_delay_alu instid0(VALU_DEP_1) | instskip(SKIP_2) | instid1(VALU_DEP_2)
	v_cndmask_b32_e64 v2, v14, v2, s2
	v_cndmask_b32_e64 v13, v13, s5, s2
	s_or_b32 s5, s3, 9
	v_cmp_gt_f32_e64 s2, v3, v2
	s_delay_alu instid0(VALU_DEP_1) | instskip(NEXT) | instid1(VALU_DEP_3)
	v_cndmask_b32_e64 v14, v2, v3, s2
	v_cndmask_b32_e64 v13, v13, s5, s2
	ds_load_2addr_b32 v[2:3], v6 offset0:192 offset1:208
	s_or_b32 s5, s3, 10
	s_waitcnt lgkmcnt(1)
	v_cmp_gt_f32_e64 s2, v11, v14
	s_delay_alu instid0(VALU_DEP_1) | instskip(SKIP_2) | instid1(VALU_DEP_2)
	v_cndmask_b32_e64 v11, v14, v11, s2
	v_cndmask_b32_e64 v13, v13, s5, s2
	s_or_b32 s5, s3, 11
	v_cmp_gt_f32_e64 s2, v12, v11
	s_delay_alu instid0(VALU_DEP_1) | instskip(NEXT) | instid1(VALU_DEP_3)
	v_cndmask_b32_e64 v11, v11, v12, s2
	v_cndmask_b32_e64 v14, v13, s5, s2
	ds_load_2addr_b32 v[12:13], v6 offset0:224 offset1:240
	s_or_b32 s5, s3, 12
	s_waitcnt lgkmcnt(1)
	v_cmp_gt_f32_e64 s2, v2, v11
	s_delay_alu instid0(VALU_DEP_1) | instskip(SKIP_2) | instid1(VALU_DEP_2)
	v_cndmask_b32_e64 v2, v11, v2, s2
	v_cndmask_b32_e64 v14, v14, s5, s2
	s_or_b32 s5, s3, 13
	v_cmp_gt_f32_e64 s2, v3, v2
	s_delay_alu instid0(VALU_DEP_1) | instskip(NEXT) | instid1(VALU_DEP_3)
	v_cndmask_b32_e64 v2, v2, v3, s2
	v_cndmask_b32_e64 v11, v14, s5, s2
	s_or_b32 s5, s3, 14
	s_waitcnt lgkmcnt(0)
	s_delay_alu instid0(VALU_DEP_2) | instskip(NEXT) | instid1(VALU_DEP_1)
	v_cmp_gt_f32_e64 s2, v12, v2
	v_cndmask_b32_e64 v2, v2, v12, s2
	v_cndmask_b32_e64 v3, v11, s5, s2
	s_or_b32 s5, s3, 15
	s_delay_alu instid0(VALU_DEP_2) | instskip(NEXT) | instid1(VALU_DEP_1)
	v_cmp_gt_f32_e64 s2, v13, v2
	v_cndmask_b32_e64 v12, v3, s5, s2
	v_cndmask_b32_e64 v11, v2, v13, s2
.LBB4_12:                               ;   in Loop: Header=BB4_6 Depth=1
	s_or_b32 exec_lo, exec_lo, s4
	v_add_co_u32 v0, s2, 0x2000, v0
	s_delay_alu instid0(VALU_DEP_1)
	v_add_co_ci_u32_e64 v1, s2, 0, v1, s2
	s_add_i32 s2, s3, 16
	s_cmpk_gt_u32 s3, 0x3fef
	s_barrier
	buffer_gl0_inv
	s_cbranch_scc1 .LBB4_14
; %bb.13:                               ;   in Loop: Header=BB4_6 Depth=1
	s_mov_b32 s3, s2
	s_and_saveexec_b32 s4, vcc_lo
	s_cbranch_execnz .LBB4_4
	s_branch .LBB4_6
.LBB4_14:
	s_and_saveexec_b32 s1, s0
	s_cbranch_execz .LBB4_16
; %bb.15:
	v_add_nc_u32_e32 v0, s10, v4
	s_delay_alu instid0(VALU_DEP_1) | instskip(NEXT) | instid1(VALU_DEP_1)
	v_ashrrev_i32_e32 v1, 31, v0
	v_lshlrev_b64 v[0:1], 2, v[0:1]
	s_delay_alu instid0(VALU_DEP_1) | instskip(NEXT) | instid1(VALU_DEP_2)
	v_add_co_u32 v2, vcc_lo, s6, v0
	v_add_co_ci_u32_e32 v3, vcc_lo, s7, v1, vcc_lo
	v_add_co_u32 v0, vcc_lo, s8, v0
	v_add_co_ci_u32_e32 v1, vcc_lo, s9, v1, vcc_lo
	global_store_b32 v[2:3], v11, off
	global_store_b32 v[0:1], v12, off
.LBB4_16:
	s_nop 0
	s_sendmsg sendmsg(MSG_DEALLOC_VGPRS)
	s_endpgm
	.section	.rodata,"a",@progbits
	.p2align	6, 0x0
	.amdhsa_kernel _Z6Match5PKfS0_PfPi
		.amdhsa_group_segment_fixed_size 17664
		.amdhsa_private_segment_fixed_size 0
		.amdhsa_kernarg_size 32
		.amdhsa_user_sgpr_count 15
		.amdhsa_user_sgpr_dispatch_ptr 0
		.amdhsa_user_sgpr_queue_ptr 0
		.amdhsa_user_sgpr_kernarg_segment_ptr 1
		.amdhsa_user_sgpr_dispatch_id 0
		.amdhsa_user_sgpr_private_segment_size 0
		.amdhsa_wavefront_size32 1
		.amdhsa_uses_dynamic_stack 0
		.amdhsa_enable_private_segment 0
		.amdhsa_system_sgpr_workgroup_id_x 1
		.amdhsa_system_sgpr_workgroup_id_y 0
		.amdhsa_system_sgpr_workgroup_id_z 0
		.amdhsa_system_sgpr_workgroup_info 0
		.amdhsa_system_vgpr_workitem_id 1
		.amdhsa_next_free_vgpr 55
		.amdhsa_next_free_sgpr 16
		.amdhsa_reserve_vcc 1
		.amdhsa_float_round_mode_32 0
		.amdhsa_float_round_mode_16_64 0
		.amdhsa_float_denorm_mode_32 3
		.amdhsa_float_denorm_mode_16_64 3
		.amdhsa_dx10_clamp 1
		.amdhsa_ieee_mode 1
		.amdhsa_fp16_overflow 0
		.amdhsa_workgroup_processor_mode 1
		.amdhsa_memory_ordered 1
		.amdhsa_forward_progress 0
		.amdhsa_shared_vgpr_count 0
		.amdhsa_exception_fp_ieee_invalid_op 0
		.amdhsa_exception_fp_denorm_src 0
		.amdhsa_exception_fp_ieee_div_zero 0
		.amdhsa_exception_fp_ieee_overflow 0
		.amdhsa_exception_fp_ieee_underflow 0
		.amdhsa_exception_fp_ieee_inexact 0
		.amdhsa_exception_int_div_zero 0
	.end_amdhsa_kernel
	.text
.Lfunc_end4:
	.size	_Z6Match5PKfS0_PfPi, .Lfunc_end4-_Z6Match5PKfS0_PfPi
                                        ; -- End function
	.section	.AMDGPU.csdata,"",@progbits
; Kernel info:
; codeLenInByte = 1624
; NumSgprs: 18
; NumVgprs: 55
; ScratchSize: 0
; MemoryBound: 0
; FloatMode: 240
; IeeeMode: 1
; LDSByteSize: 17664 bytes/workgroup (compile time only)
; SGPRBlocks: 2
; VGPRBlocks: 6
; NumSGPRsForWavesPerEU: 18
; NumVGPRsForWavesPerEU: 55
; Occupancy: 16
; WaveLimiterHint : 0
; COMPUTE_PGM_RSRC2:SCRATCH_EN: 0
; COMPUTE_PGM_RSRC2:USER_SGPR: 15
; COMPUTE_PGM_RSRC2:TRAP_HANDLER: 0
; COMPUTE_PGM_RSRC2:TGID_X_EN: 1
; COMPUTE_PGM_RSRC2:TGID_Y_EN: 0
; COMPUTE_PGM_RSRC2:TGID_Z_EN: 0
; COMPUTE_PGM_RSRC2:TIDIG_COMP_CNT: 1
	.text
	.protected	_Z6Match6PKfS0_PfPi     ; -- Begin function _Z6Match6PKfS0_PfPi
	.globl	_Z6Match6PKfS0_PfPi
	.p2align	8
	.type	_Z6Match6PKfS0_PfPi,@function
_Z6Match6PKfS0_PfPi:                    ; @_Z6Match6PKfS0_PfPi
; %bb.0:
	s_clause 0x1
	s_load_b128 s[4:7], s[0:1], 0x8
	s_load_b64 s[8:9], s[0:1], 0x18
	v_bfe_u32 v5, v0, 10, 10
	v_and_b32_e32 v4, 0x3ff, v0
	s_lshl_b32 s10, s15, 4
	s_delay_alu instid0(VALU_DEP_2) | instskip(NEXT) | instid1(VALU_DEP_2)
	v_cmp_gt_u32_e64 s2, 16, v5
	v_cmp_gt_u32_e32 vcc_lo, 32, v4
	s_delay_alu instid0(VALU_DEP_2) | instskip(NEXT) | instid1(SALU_CYCLE_1)
	s_and_b32 s2, s2, vcc_lo
	s_and_saveexec_b32 s11, s2
	s_cbranch_execz .LBB5_3
; %bb.1:
	s_load_b64 s[2:3], s[0:1], 0x0
	v_or_b32_e32 v0, s10, v5
	v_mul_u32_u24_e32 v1, 33, v5
	v_mov_b32_e32 v2, v4
	s_mov_b32 s1, 0
	s_delay_alu instid0(VALU_DEP_3) | instskip(NEXT) | instid1(VALU_DEP_3)
	v_lshlrev_b32_e32 v0, 5, v0
	v_add_lshl_u32 v1, v1, v4, 4
	.p2align	6
.LBB5_2:                                ; =>This Inner Loop Header: Depth=1
	s_delay_alu instid0(VALU_DEP_2) | instskip(SKIP_1) | instid1(VALU_DEP_2)
	v_add_nc_u32_e32 v6, v0, v2
	v_add_nc_u32_e32 v3, 16, v2
	v_ashrrev_i32_e32 v7, 31, v6
	s_delay_alu instid0(VALU_DEP_1) | instskip(SKIP_1) | instid1(VALU_DEP_1)
	v_lshlrev_b64 v[6:7], 4, v[6:7]
	s_waitcnt lgkmcnt(0)
	v_add_co_u32 v6, s0, s2, v6
	s_delay_alu instid0(VALU_DEP_1)
	v_add_co_ci_u32_e64 v7, s0, s3, v7, s0
	v_cmp_lt_u32_e64 s0, 15, v2
	v_mov_b32_e32 v2, v3
	global_load_b128 v[6:9], v[6:7], off
	s_or_b32 s1, s0, s1
	s_waitcnt vmcnt(0)
	ds_store_b128 v1, v[6:9]
	v_add_nc_u32_e32 v1, 0x100, v1
	s_and_not1_b32 exec_lo, exec_lo, s1
	s_cbranch_execnz .LBB5_2
.LBB5_3:
	s_or_b32 exec_lo, exec_lo, s11
	v_lshlrev_b32_e32 v0, 5, v5
	v_mul_u32_u24_e32 v2, 33, v4
	v_dual_mov_b32 v12, -1 :: v_dual_lshlrev_b32 v3, 9, v5
	v_lshlrev_b32_e32 v9, 4, v4
	s_delay_alu instid0(VALU_DEP_4)
	v_add_lshl_u32 v0, v4, v0, 4
	v_cmp_gt_u32_e64 s0, 4, v5
	v_lshlrev_b32_e32 v6, 2, v5
	v_dual_mov_b32 v8, 0 :: v_dual_add_nc_u32 v7, -16, v4
	s_waitcnt lgkmcnt(0)
	v_add_co_u32 v0, s1, s4, v0
	s_delay_alu instid0(VALU_DEP_1)
	v_add_co_ci_u32_e64 v1, null, s5, 0, s1
	v_add3_u32 v9, v3, v9, 0x2100
	v_lshl_add_u32 v10, v5, 11, 0x2100
	v_lshlrev_b32_e32 v11, 4, v2
	s_mov_b32 s2, 0
	s_and_saveexec_b32 s3, vcc_lo
	s_cbranch_execz .LBB5_6
.LBB5_4:
	v_dual_mov_b32 v3, v1 :: v_dual_mov_b32 v14, v7
	v_dual_mov_b32 v13, v9 :: v_dual_mov_b32 v2, v0
	s_mov_b32 s4, 0
	.p2align	6
.LBB5_5:                                ; =>This Inner Loop Header: Depth=1
	global_load_b128 v[15:18], v[2:3], off
	v_add_co_u32 v2, s1, 0x100, v2
	v_add_co_u32 v14, s5, v14, 16
	v_add_co_ci_u32_e64 v3, s1, 0, v3, s1
	s_xor_b32 s1, s5, -1
	s_delay_alu instid0(SALU_CYCLE_1) | instskip(NEXT) | instid1(SALU_CYCLE_1)
	s_and_b32 s1, exec_lo, s1
	s_or_b32 s4, s1, s4
	s_waitcnt vmcnt(0)
	ds_store_b128 v13, v[15:18]
	v_add_nc_u32_e32 v13, 0x100, v13
	s_and_not1_b32 exec_lo, exec_lo, s4
	s_cbranch_execnz .LBB5_5
.LBB5_6:                                ; =>This Loop Header: Depth=1
                                        ;     Child Loop BB5_8 Depth 2
	s_or_b32 exec_lo, exec_lo, s3
	s_waitcnt lgkmcnt(0)
	s_barrier
	buffer_gl0_inv
	s_and_saveexec_b32 s3, s0
	s_cbranch_execz .LBB5_10
; %bb.7:                                ;   in Loop: Header=BB5_6 Depth=1
	v_dual_mov_b32 v14, 0 :: v_dual_mov_b32 v13, 0
	v_dual_mov_b32 v3, 0 :: v_dual_mov_b32 v2, 0
	s_mov_b32 s1, 0
.LBB5_8:                                ;   Parent Loop BB5_6 Depth=1
                                        ; =>  This Inner Loop Header: Depth=2
	s_delay_alu instid0(SALU_CYCLE_1)
	v_add_nc_u32_e32 v51, s1, v10
	v_add_nc_u32_e32 v35, s1, v11
	s_add_i32 s1, s1, 32
	ds_load_b128 v[15:18], v51
	ds_load_b128 v[19:22], v35
	ds_load_b128 v[23:26], v51 offset:512
	ds_load_b128 v[27:30], v51 offset:1024
	;; [unrolled: 1-line block ×8, first 2 shown]
	s_cmpk_eq_i32 s1, 0x200
	s_waitcnt lgkmcnt(8)
	v_fmac_f32_e32 v14, v19, v15
	s_waitcnt lgkmcnt(5)
	v_fmac_f32_e32 v2, v19, v31
	s_delay_alu instid0(VALU_DEP_2) | instskip(NEXT) | instid1(VALU_DEP_2)
	v_dual_fmac_f32 v13, v19, v23 :: v_dual_fmac_f32 v14, v20, v16
	v_dual_fmac_f32 v3, v19, v27 :: v_dual_fmac_f32 v2, v20, v32
	s_delay_alu instid0(VALU_DEP_2) | instskip(NEXT) | instid1(VALU_DEP_2)
	v_dual_fmac_f32 v13, v20, v24 :: v_dual_fmac_f32 v14, v21, v17
	v_dual_fmac_f32 v3, v20, v28 :: v_dual_fmac_f32 v2, v21, v33
	;; [unrolled: 3-line block ×3, first 2 shown]
	s_waitcnt lgkmcnt(3)
	s_delay_alu instid0(VALU_DEP_2) | instskip(SKIP_1) | instid1(VALU_DEP_2)
	v_dual_fmac_f32 v13, v22, v26 :: v_dual_fmac_f32 v14, v35, v39
	s_waitcnt lgkmcnt(0)
	v_dual_fmac_f32 v3, v22, v30 :: v_dual_fmac_f32 v2, v35, v51
	s_delay_alu instid0(VALU_DEP_2) | instskip(NEXT) | instid1(VALU_DEP_2)
	v_dual_fmac_f32 v13, v35, v43 :: v_dual_fmac_f32 v14, v36, v40
	v_dual_fmac_f32 v3, v35, v47 :: v_dual_fmac_f32 v2, v36, v52
	s_delay_alu instid0(VALU_DEP_2) | instskip(NEXT) | instid1(VALU_DEP_2)
	v_dual_fmac_f32 v13, v36, v44 :: v_dual_fmac_f32 v14, v37, v41
	;; [unrolled: 3-line block ×3, first 2 shown]
	v_dual_fmac_f32 v3, v37, v49 :: v_dual_fmac_f32 v2, v38, v54
	s_delay_alu instid0(VALU_DEP_2) | instskip(NEXT) | instid1(VALU_DEP_2)
	v_fmac_f32_e32 v13, v38, v46
	v_fmac_f32_e32 v3, v38, v50
	s_cbranch_scc0 .LBB5_8
; %bb.9:                                ;   in Loop: Header=BB5_6 Depth=1
	v_cmp_gt_f32_e64 s1, v14, v8
	v_or_b32_e32 v15, s2, v6
	s_delay_alu instid0(VALU_DEP_2) | instskip(NEXT) | instid1(VALU_DEP_2)
	v_cndmask_b32_e64 v8, v8, v14, s1
	v_cndmask_b32_e64 v12, v12, v15, s1
	v_or_b32_e32 v14, 1, v15
	s_delay_alu instid0(VALU_DEP_3) | instskip(NEXT) | instid1(VALU_DEP_1)
	v_cmp_gt_f32_e64 s1, v13, v8
	v_cndmask_b32_e64 v8, v8, v13, s1
	s_delay_alu instid0(VALU_DEP_3) | instskip(SKIP_1) | instid1(VALU_DEP_3)
	v_cndmask_b32_e64 v12, v12, v14, s1
	v_or_b32_e32 v13, 2, v15
	v_cmp_gt_f32_e64 s1, v3, v8
	s_delay_alu instid0(VALU_DEP_1) | instskip(NEXT) | instid1(VALU_DEP_3)
	v_cndmask_b32_e64 v3, v8, v3, s1
	v_cndmask_b32_e64 v12, v12, v13, s1
	v_or_b32_e32 v8, 3, v15
	s_delay_alu instid0(VALU_DEP_3) | instskip(NEXT) | instid1(VALU_DEP_1)
	v_cmp_gt_f32_e64 s1, v2, v3
	v_cndmask_b32_e64 v12, v12, v8, s1
	v_cndmask_b32_e64 v8, v3, v2, s1
.LBB5_10:                               ;   in Loop: Header=BB5_6 Depth=1
	s_or_b32 exec_lo, exec_lo, s3
	v_add_co_u32 v0, s1, 0x2000, v0
	s_delay_alu instid0(VALU_DEP_1)
	v_add_co_ci_u32_e64 v1, s1, 0, v1, s1
	s_add_i32 s1, s2, 16
	s_cmpk_gt_u32 s2, 0x3fef
	s_barrier
	buffer_gl0_inv
	s_cbranch_scc1 .LBB5_12
; %bb.11:                               ;   in Loop: Header=BB5_6 Depth=1
	s_mov_b32 s2, s1
	s_and_saveexec_b32 s3, vcc_lo
	s_cbranch_execnz .LBB5_4
	s_branch .LBB5_6
.LBB5_12:
	s_and_saveexec_b32 s1, s0
	s_cbranch_execz .LBB5_14
; %bb.13:
	v_lshlrev_b32_e32 v0, 4, v5
	s_delay_alu instid0(VALU_DEP_1)
	v_add_lshl_u32 v0, v0, v4, 2
	ds_store_2addr_stride64_b32 v0, v8, v12 offset1:1
.LBB5_14:
	s_or_b32 exec_lo, exec_lo, s1
	s_waitcnt lgkmcnt(0)
	s_barrier
	buffer_gl0_inv
	s_mov_b32 s0, exec_lo
	v_cmpx_eq_u32_e32 0, v5
	s_cbranch_execz .LBB5_16
; %bb.15:
	v_add_nc_u32_e32 v5, 16, v4
	v_lshlrev_b32_e32 v2, 2, v4
	ds_load_2addr_b32 v[0:1], v2 offset1:16
	ds_load_2addr_b32 v[2:3], v2 offset0:32 offset1:48
	s_waitcnt lgkmcnt(1)
	v_cmp_gt_f32_e32 vcc_lo, v1, v0
	v_cndmask_b32_e32 v0, v0, v1, vcc_lo
	v_cndmask_b32_e32 v5, v4, v5, vcc_lo
	s_waitcnt lgkmcnt(0)
	s_delay_alu instid0(VALU_DEP_2) | instskip(SKIP_1) | instid1(VALU_DEP_1)
	v_cmp_gt_f32_e32 vcc_lo, v2, v0
	v_dual_cndmask_b32 v2, v0, v2 :: v_dual_add_nc_u32 v1, 32, v4
	v_dual_cndmask_b32 v1, v5, v1 :: v_dual_add_nc_u32 v0, 48, v4
	s_delay_alu instid0(VALU_DEP_2) | instskip(NEXT) | instid1(VALU_DEP_2)
	v_cmp_gt_f32_e32 vcc_lo, v3, v2
	v_cndmask_b32_e32 v1, v1, v0, vcc_lo
	v_dual_cndmask_b32 v5, v2, v3 :: v_dual_add_nc_u32 v0, s10, v4
	s_delay_alu instid0(VALU_DEP_2) | instskip(NEXT) | instid1(VALU_DEP_2)
	v_lshlrev_b32_e32 v4, 2, v1
	v_ashrrev_i32_e32 v1, 31, v0
	ds_load_b32 v4, v4 offset:256
	v_lshlrev_b64 v[0:1], 2, v[0:1]
	s_delay_alu instid0(VALU_DEP_1) | instskip(NEXT) | instid1(VALU_DEP_2)
	v_add_co_u32 v2, vcc_lo, s6, v0
	v_add_co_ci_u32_e32 v3, vcc_lo, s7, v1, vcc_lo
	v_add_co_u32 v0, vcc_lo, s8, v0
	v_add_co_ci_u32_e32 v1, vcc_lo, s9, v1, vcc_lo
	global_store_b32 v[2:3], v5, off
	s_waitcnt lgkmcnt(0)
	global_store_b32 v[0:1], v4, off
.LBB5_16:
	s_nop 0
	s_sendmsg sendmsg(MSG_DEALLOC_VGPRS)
	s_endpgm
	.section	.rodata,"a",@progbits
	.p2align	6, 0x0
	.amdhsa_kernel _Z6Match6PKfS0_PfPi
		.amdhsa_group_segment_fixed_size 16640
		.amdhsa_private_segment_fixed_size 0
		.amdhsa_kernarg_size 32
		.amdhsa_user_sgpr_count 15
		.amdhsa_user_sgpr_dispatch_ptr 0
		.amdhsa_user_sgpr_queue_ptr 0
		.amdhsa_user_sgpr_kernarg_segment_ptr 1
		.amdhsa_user_sgpr_dispatch_id 0
		.amdhsa_user_sgpr_private_segment_size 0
		.amdhsa_wavefront_size32 1
		.amdhsa_uses_dynamic_stack 0
		.amdhsa_enable_private_segment 0
		.amdhsa_system_sgpr_workgroup_id_x 1
		.amdhsa_system_sgpr_workgroup_id_y 0
		.amdhsa_system_sgpr_workgroup_id_z 0
		.amdhsa_system_sgpr_workgroup_info 0
		.amdhsa_system_vgpr_workitem_id 1
		.amdhsa_next_free_vgpr 55
		.amdhsa_next_free_sgpr 16
		.amdhsa_reserve_vcc 1
		.amdhsa_float_round_mode_32 0
		.amdhsa_float_round_mode_16_64 0
		.amdhsa_float_denorm_mode_32 3
		.amdhsa_float_denorm_mode_16_64 3
		.amdhsa_dx10_clamp 1
		.amdhsa_ieee_mode 1
		.amdhsa_fp16_overflow 0
		.amdhsa_workgroup_processor_mode 1
		.amdhsa_memory_ordered 1
		.amdhsa_forward_progress 0
		.amdhsa_shared_vgpr_count 0
		.amdhsa_exception_fp_ieee_invalid_op 0
		.amdhsa_exception_fp_denorm_src 0
		.amdhsa_exception_fp_ieee_div_zero 0
		.amdhsa_exception_fp_ieee_overflow 0
		.amdhsa_exception_fp_ieee_underflow 0
		.amdhsa_exception_fp_ieee_inexact 0
		.amdhsa_exception_int_div_zero 0
	.end_amdhsa_kernel
	.text
.Lfunc_end5:
	.size	_Z6Match6PKfS0_PfPi, .Lfunc_end5-_Z6Match6PKfS0_PfPi
                                        ; -- End function
	.section	.AMDGPU.csdata,"",@progbits
; Kernel info:
; codeLenInByte = 1204
; NumSgprs: 18
; NumVgprs: 55
; ScratchSize: 0
; MemoryBound: 0
; FloatMode: 240
; IeeeMode: 1
; LDSByteSize: 16640 bytes/workgroup (compile time only)
; SGPRBlocks: 2
; VGPRBlocks: 6
; NumSGPRsForWavesPerEU: 18
; NumVGPRsForWavesPerEU: 55
; Occupancy: 16
; WaveLimiterHint : 0
; COMPUTE_PGM_RSRC2:SCRATCH_EN: 0
; COMPUTE_PGM_RSRC2:USER_SGPR: 15
; COMPUTE_PGM_RSRC2:TRAP_HANDLER: 0
; COMPUTE_PGM_RSRC2:TGID_X_EN: 1
; COMPUTE_PGM_RSRC2:TGID_Y_EN: 0
; COMPUTE_PGM_RSRC2:TGID_Z_EN: 0
; COMPUTE_PGM_RSRC2:TIDIG_COMP_CNT: 1
	.text
	.protected	_Z6Match7PKfS0_PfPi     ; -- Begin function _Z6Match7PKfS0_PfPi
	.globl	_Z6Match7PKfS0_PfPi
	.p2align	8
	.type	_Z6Match7PKfS0_PfPi,@function
_Z6Match7PKfS0_PfPi:                    ; @_Z6Match7PKfS0_PfPi
; %bb.0:
	v_and_b32_e32 v6, 0x3ff, v0
	v_bfe_u32 v7, v0, 10, 10
	s_delay_alu instid0(VALU_DEP_1) | instskip(NEXT) | instid1(VALU_DEP_1)
	v_or_b32_e32 v0, v6, v7
	v_cmp_gt_u32_e32 vcc_lo, 32, v0
	v_cmp_lt_u32_e64 s2, 31, v0
	v_lshlrev_b32_e32 v0, 5, v7
	s_delay_alu instid0(VALU_DEP_2) | instskip(NEXT) | instid1(SALU_CYCLE_1)
	s_and_saveexec_b32 s3, s2
	s_xor_b32 s2, exec_lo, s3
; %bb.1:
	v_lshlrev_b32_e32 v0, 5, v7
; %bb.2:
	s_or_saveexec_b32 s10, s2
	s_clause 0x1
	s_load_b128 s[4:7], s[0:1], 0x8
	s_load_b64 s[2:3], s[0:1], 0x18
	s_xor_b32 exec_lo, exec_lo, s10
	s_cbranch_execz .LBB6_6
; %bb.3:
	s_load_b64 s[8:9], s[0:1], 0x0
	v_add_nc_u32_e32 v1, v7, v6
	v_lshl_add_u32 v2, s15, 10, v0
	v_dual_mov_b32 v3, v0 :: v_dual_mov_b32 v4, v7
	s_mov_b32 s1, 0
	.p2align	6
.LBB6_4:                                ; =>This Inner Loop Header: Depth=1
	s_delay_alu instid0(VALU_DEP_2) | instskip(NEXT) | instid1(VALU_DEP_2)
	v_add_nc_u32_e32 v8, v6, v2
	v_add_nc_u32_e32 v12, 8, v4
	v_and_b32_e32 v5, 31, v1
	v_add_nc_u16 v1, v1, 8
	v_add_nc_u32_e32 v2, 0x100, v2
	v_ashrrev_i32_e32 v9, 31, v8
	s_delay_alu instid0(VALU_DEP_1) | instskip(SKIP_1) | instid1(VALU_DEP_1)
	v_lshlrev_b64 v[8:9], 4, v[8:9]
	s_waitcnt lgkmcnt(0)
	v_add_co_u32 v8, s0, s8, v8
	s_delay_alu instid0(VALU_DEP_1)
	v_add_co_ci_u32_e64 v9, s0, s9, v9, s0
	v_cmp_lt_u32_e64 s0, 23, v4
	v_mov_b32_e32 v4, v12
	v_add_lshl_u32 v5, v3, v5, 4
	global_load_b128 v[8:11], v[8:9], off
	v_add_nc_u32_e32 v3, 0x100, v3
	s_or_b32 s1, s0, s1
	s_waitcnt vmcnt(0)
	ds_store_b128 v5, v[8:11]
	s_and_not1_b32 exec_lo, exec_lo, s1
	s_cbranch_execnz .LBB6_4
; %bb.5:
	s_or_b32 exec_lo, exec_lo, s1
.LBB6_6:
	s_delay_alu instid0(SALU_CYCLE_1) | instskip(SKIP_4) | instid1(VALU_DEP_4)
	s_or_b32 exec_lo, exec_lo, s10
	v_dual_mov_b32 v1, 0 :: v_dual_add_nc_u32 v0, v6, v0
	v_dual_mov_b32 v13, -1 :: v_dual_lshlrev_b32 v4, 9, v7
	v_lshlrev_b32_e32 v5, 4, v6
	v_lshlrev_b32_e32 v8, 5, v6
	v_lshlrev_b64 v[2:3], 4, v[0:1]
	v_lshlrev_b32_e32 v9, 2, v7
	v_add_nc_u32_e32 v10, -8, v7
	v_add3_u32 v11, v4, v5, 0x4000
	v_lshl_add_u32 v12, v7, 11, 0x4000
	s_waitcnt lgkmcnt(0)
	v_add_co_u32 v2, s0, s4, v2
	s_delay_alu instid0(VALU_DEP_1)
	v_add_co_ci_u32_e64 v3, s0, s5, v3, s0
	s_mov_b32 s4, 0
	s_and_saveexec_b32 s5, vcc_lo
	s_cbranch_execz .LBB6_9
.LBB6_7:
	s_delay_alu instid0(VALU_DEP_1)
	v_dual_mov_b32 v5, v3 :: v_dual_mov_b32 v4, v2
	v_dual_mov_b32 v14, v11 :: v_dual_mov_b32 v15, v10
	s_mov_b32 s8, 0
	.p2align	6
.LBB6_8:                                ; =>This Inner Loop Header: Depth=1
	global_load_b128 v[16:19], v[4:5], off
	v_add_nc_u32_e32 v15, 8, v15
	v_add_co_u32 v4, s0, 0x1000, v4
	s_delay_alu instid0(VALU_DEP_1) | instskip(NEXT) | instid1(VALU_DEP_3)
	v_add_co_ci_u32_e64 v5, s0, 0, v5, s0
	v_cmp_lt_u32_e64 s1, 23, v15
	s_delay_alu instid0(VALU_DEP_1)
	s_or_b32 s8, s1, s8
	s_waitcnt vmcnt(0)
	ds_store_b128 v14, v[16:19]
	v_add_nc_u32_e32 v14, 0x1000, v14
	s_and_not1_b32 exec_lo, exec_lo, s8
	s_cbranch_execnz .LBB6_8
.LBB6_9:                                ; =>This Loop Header: Depth=1
                                        ;     Child Loop BB6_10 Depth 2
	s_or_b32 exec_lo, exec_lo, s5
	v_dual_mov_b32 v15, 0 :: v_dual_mov_b32 v16, v12
	v_dual_mov_b32 v14, 0 :: v_dual_mov_b32 v5, 0
	v_mov_b32_e32 v4, 0
	s_mov_b32 s0, 0
	s_waitcnt lgkmcnt(0)
	s_barrier
	buffer_gl0_inv
.LBB6_10:                               ;   Parent Loop BB6_9 Depth=1
                                        ; =>  This Inner Loop Header: Depth=2
	ds_load_b128 v[17:20], v16
	ds_load_b128 v[21:24], v16 offset:16
	ds_load_b128 v[25:28], v16 offset:512
	;; [unrolled: 1-line block ×5, first 2 shown]
	v_add_nc_u32_e32 v53, s0, v6
	ds_load_b128 v[41:44], v16 offset:1536
	s_add_i32 s0, s0, 2
	s_delay_alu instid0(SALU_CYCLE_1) | instskip(SKIP_1) | instid1(VALU_DEP_1)
	s_cmp_eq_u32 s0, 32
	v_and_or_b32 v45, v53, 31, v8
	v_lshlrev_b32_e32 v49, 4, v45
	ds_load_b128 v[45:48], v16 offset:1552
	ds_load_b128 v[49:52], v49
	v_add_nc_u32_e32 v16, 32, v16
	s_waitcnt lgkmcnt(0)
	v_fmac_f32_e32 v14, v49, v25
	v_fmac_f32_e32 v4, v49, v41
	s_delay_alu instid0(VALU_DEP_2) | instskip(NEXT) | instid1(VALU_DEP_2)
	v_dual_fmac_f32 v14, v50, v26 :: v_dual_add_nc_u32 v53, 1, v53
	v_fmac_f32_e32 v4, v50, v42
	s_delay_alu instid0(VALU_DEP_2) | instskip(NEXT) | instid1(VALU_DEP_3)
	v_and_or_b32 v53, v53, 31, v8
	v_dual_fmac_f32 v15, v49, v17 :: v_dual_fmac_f32 v14, v51, v27
	s_delay_alu instid0(VALU_DEP_2) | instskip(SKIP_1) | instid1(VALU_DEP_3)
	v_dual_fmac_f32 v4, v51, v43 :: v_dual_lshlrev_b32 v53, 4, v53
	v_fmac_f32_e32 v5, v49, v33
	v_dual_fmac_f32 v15, v50, v18 :: v_dual_fmac_f32 v14, v52, v28
	s_delay_alu instid0(VALU_DEP_3) | instskip(SKIP_4) | instid1(VALU_DEP_2)
	v_fmac_f32_e32 v4, v52, v44
	ds_load_b128 v[53:56], v53
	v_fmac_f32_e32 v5, v50, v34
	v_fmac_f32_e32 v15, v51, v19
	s_waitcnt lgkmcnt(0)
	v_dual_fmac_f32 v5, v51, v35 :: v_dual_fmac_f32 v4, v53, v45
	s_delay_alu instid0(VALU_DEP_1) | instskip(NEXT) | instid1(VALU_DEP_2)
	v_dual_fmac_f32 v5, v52, v36 :: v_dual_fmac_f32 v14, v53, v29
	v_dual_fmac_f32 v15, v52, v20 :: v_dual_fmac_f32 v4, v54, v46
	s_delay_alu instid0(VALU_DEP_2) | instskip(NEXT) | instid1(VALU_DEP_2)
	v_dual_fmac_f32 v5, v53, v37 :: v_dual_fmac_f32 v14, v54, v30
	v_dual_fmac_f32 v15, v53, v21 :: v_dual_fmac_f32 v4, v55, v47
	s_delay_alu instid0(VALU_DEP_1) | instskip(NEXT) | instid1(VALU_DEP_2)
	v_dual_fmac_f32 v14, v55, v31 :: v_dual_fmac_f32 v15, v54, v22
	v_dual_fmac_f32 v5, v54, v38 :: v_dual_fmac_f32 v4, v56, v48
	s_delay_alu instid0(VALU_DEP_2) | instskip(NEXT) | instid1(VALU_DEP_2)
	v_dual_fmac_f32 v14, v56, v32 :: v_dual_fmac_f32 v15, v55, v23
	v_fmac_f32_e32 v5, v55, v39
	s_delay_alu instid0(VALU_DEP_2) | instskip(NEXT) | instid1(VALU_DEP_2)
	v_fmac_f32_e32 v15, v56, v24
	v_fmac_f32_e32 v5, v56, v40
	s_cbranch_scc0 .LBB6_10
; %bb.11:                               ;   in Loop: Header=BB6_9 Depth=1
	s_delay_alu instid0(VALU_DEP_2)
	v_cmp_gt_f32_e64 s0, v15, v1
	v_add_nc_u32_e32 v16, s4, v9
	s_barrier
	buffer_gl0_inv
	v_cndmask_b32_e64 v1, v1, v15, s0
	v_cndmask_b32_e64 v13, v13, v16, s0
	v_or_b32_e32 v15, 1, v16
	s_delay_alu instid0(VALU_DEP_3) | instskip(NEXT) | instid1(VALU_DEP_1)
	v_cmp_gt_f32_e64 s0, v14, v1
	v_cndmask_b32_e64 v1, v1, v14, s0
	s_delay_alu instid0(VALU_DEP_3) | instskip(SKIP_1) | instid1(VALU_DEP_3)
	v_cndmask_b32_e64 v13, v13, v15, s0
	v_or_b32_e32 v14, 2, v16
	v_cmp_gt_f32_e64 s0, v5, v1
	s_delay_alu instid0(VALU_DEP_1) | instskip(NEXT) | instid1(VALU_DEP_3)
	v_cndmask_b32_e64 v1, v1, v5, s0
	v_cndmask_b32_e64 v13, v13, v14, s0
	v_or_b32_e32 v5, 3, v16
	s_delay_alu instid0(VALU_DEP_3) | instskip(NEXT) | instid1(VALU_DEP_1)
	v_cmp_gt_f32_e64 s0, v4, v1
	v_cndmask_b32_e64 v13, v13, v5, s0
	v_cndmask_b32_e64 v1, v1, v4, s0
	v_add_co_u32 v2, s0, 0x4000, v2
	s_delay_alu instid0(VALU_DEP_1)
	v_add_co_ci_u32_e64 v3, s0, 0, v3, s0
	s_add_i32 s0, s4, 32
	s_cmpk_gt_u32 s4, 0x3fdf
	s_cbranch_scc1 .LBB6_13
; %bb.12:                               ;   in Loop: Header=BB6_9 Depth=1
	s_mov_b32 s4, s0
	s_and_saveexec_b32 s5, vcc_lo
	s_cbranch_execnz .LBB6_7
	s_branch .LBB6_9
.LBB6_13:
	v_lshlrev_b32_e32 v0, 2, v0
	s_mov_b32 s0, exec_lo
	ds_store_2addr_stride64_b32 v0, v1, v13 offset1:4
	s_waitcnt lgkmcnt(0)
	s_barrier
	buffer_gl0_inv
	v_cmpx_eq_u32_e32 0, v7
	s_cbranch_execz .LBB6_15
; %bb.14:
	v_add_nc_u32_e32 v5, 32, v6
	v_lshlrev_b32_e32 v4, 2, v6
	ds_load_2addr_b32 v[0:1], v4 offset1:32
	ds_load_2addr_b32 v[2:3], v4 offset0:64 offset1:96
	v_add_nc_u32_e32 v8, 64, v6
	s_waitcnt lgkmcnt(1)
	v_cmp_gt_f32_e32 vcc_lo, v1, v0
	v_cndmask_b32_e32 v5, v6, v5, vcc_lo
	v_cndmask_b32_e32 v7, v0, v1, vcc_lo
	ds_load_2addr_b32 v[0:1], v4 offset0:128 offset1:160
	s_waitcnt lgkmcnt(1)
	v_cmp_gt_f32_e32 vcc_lo, v2, v7
	v_dual_cndmask_b32 v5, v5, v8 :: v_dual_cndmask_b32 v2, v7, v2
	v_add_nc_u32_e32 v8, 0x80, v6
	v_add_nc_u32_e32 v7, 0x60, v6
	s_delay_alu instid0(VALU_DEP_3) | instskip(NEXT) | instid1(VALU_DEP_2)
	v_cmp_gt_f32_e32 vcc_lo, v3, v2
	v_cndmask_b32_e32 v5, v5, v7, vcc_lo
	v_cndmask_b32_e32 v7, v2, v3, vcc_lo
	ds_load_2addr_b32 v[2:3], v4 offset0:192 offset1:224
	s_waitcnt lgkmcnt(1)
	v_cmp_gt_f32_e32 vcc_lo, v0, v7
	v_cndmask_b32_e32 v0, v7, v0, vcc_lo
	v_dual_cndmask_b32 v4, v5, v8 :: v_dual_add_nc_u32 v5, 0xa0, v6
	s_delay_alu instid0(VALU_DEP_2) | instskip(NEXT) | instid1(VALU_DEP_2)
	v_cmp_gt_f32_e32 vcc_lo, v1, v0
	v_cndmask_b32_e32 v4, v4, v5, vcc_lo
	v_dual_cndmask_b32 v0, v0, v1 :: v_dual_add_nc_u32 v1, 0xc0, v6
	s_waitcnt lgkmcnt(0)
	s_delay_alu instid0(VALU_DEP_1) | instskip(NEXT) | instid1(VALU_DEP_2)
	v_cmp_gt_f32_e32 vcc_lo, v2, v0
	v_cndmask_b32_e32 v1, v4, v1, vcc_lo
	v_cndmask_b32_e32 v2, v0, v2, vcc_lo
	s_delay_alu instid0(VALU_DEP_1) | instskip(SKIP_1) | instid1(VALU_DEP_1)
	v_cmp_gt_f32_e32 vcc_lo, v3, v2
	v_add_nc_u32_e32 v0, 0xe0, v6
	v_cndmask_b32_e32 v1, v1, v0, vcc_lo
	v_cndmask_b32_e32 v5, v2, v3, vcc_lo
	v_lshl_add_u32 v0, s15, 5, v6
	s_delay_alu instid0(VALU_DEP_3) | instskip(NEXT) | instid1(VALU_DEP_2)
	v_lshlrev_b32_e32 v4, 2, v1
	v_ashrrev_i32_e32 v1, 31, v0
	ds_load_b32 v4, v4 offset:1024
	v_lshlrev_b64 v[0:1], 2, v[0:1]
	s_delay_alu instid0(VALU_DEP_1) | instskip(NEXT) | instid1(VALU_DEP_2)
	v_add_co_u32 v2, vcc_lo, s6, v0
	v_add_co_ci_u32_e32 v3, vcc_lo, s7, v1, vcc_lo
	v_add_co_u32 v0, vcc_lo, s2, v0
	v_add_co_ci_u32_e32 v1, vcc_lo, s3, v1, vcc_lo
	global_store_b32 v[2:3], v5, off
	s_waitcnt lgkmcnt(0)
	global_store_b32 v[0:1], v4, off
.LBB6_15:
	s_nop 0
	s_sendmsg sendmsg(MSG_DEALLOC_VGPRS)
	s_endpgm
	.section	.rodata,"a",@progbits
	.p2align	6, 0x0
	.amdhsa_kernel _Z6Match7PKfS0_PfPi
		.amdhsa_group_segment_fixed_size 32768
		.amdhsa_private_segment_fixed_size 0
		.amdhsa_kernarg_size 32
		.amdhsa_user_sgpr_count 15
		.amdhsa_user_sgpr_dispatch_ptr 0
		.amdhsa_user_sgpr_queue_ptr 0
		.amdhsa_user_sgpr_kernarg_segment_ptr 1
		.amdhsa_user_sgpr_dispatch_id 0
		.amdhsa_user_sgpr_private_segment_size 0
		.amdhsa_wavefront_size32 1
		.amdhsa_uses_dynamic_stack 0
		.amdhsa_enable_private_segment 0
		.amdhsa_system_sgpr_workgroup_id_x 1
		.amdhsa_system_sgpr_workgroup_id_y 0
		.amdhsa_system_sgpr_workgroup_id_z 0
		.amdhsa_system_sgpr_workgroup_info 0
		.amdhsa_system_vgpr_workitem_id 1
		.amdhsa_next_free_vgpr 57
		.amdhsa_next_free_sgpr 16
		.amdhsa_reserve_vcc 1
		.amdhsa_float_round_mode_32 0
		.amdhsa_float_round_mode_16_64 0
		.amdhsa_float_denorm_mode_32 3
		.amdhsa_float_denorm_mode_16_64 3
		.amdhsa_dx10_clamp 1
		.amdhsa_ieee_mode 1
		.amdhsa_fp16_overflow 0
		.amdhsa_workgroup_processor_mode 1
		.amdhsa_memory_ordered 1
		.amdhsa_forward_progress 0
		.amdhsa_shared_vgpr_count 0
		.amdhsa_exception_fp_ieee_invalid_op 0
		.amdhsa_exception_fp_denorm_src 0
		.amdhsa_exception_fp_ieee_div_zero 0
		.amdhsa_exception_fp_ieee_overflow 0
		.amdhsa_exception_fp_ieee_underflow 0
		.amdhsa_exception_fp_ieee_inexact 0
		.amdhsa_exception_int_div_zero 0
	.end_amdhsa_kernel
	.text
.Lfunc_end6:
	.size	_Z6Match7PKfS0_PfPi, .Lfunc_end6-_Z6Match7PKfS0_PfPi
                                        ; -- End function
	.section	.AMDGPU.csdata,"",@progbits
; Kernel info:
; codeLenInByte = 1348
; NumSgprs: 18
; NumVgprs: 57
; ScratchSize: 0
; MemoryBound: 0
; FloatMode: 240
; IeeeMode: 1
; LDSByteSize: 32768 bytes/workgroup (compile time only)
; SGPRBlocks: 2
; VGPRBlocks: 7
; NumSGPRsForWavesPerEU: 18
; NumVGPRsForWavesPerEU: 57
; Occupancy: 16
; WaveLimiterHint : 0
; COMPUTE_PGM_RSRC2:SCRATCH_EN: 0
; COMPUTE_PGM_RSRC2:USER_SGPR: 15
; COMPUTE_PGM_RSRC2:TRAP_HANDLER: 0
; COMPUTE_PGM_RSRC2:TGID_X_EN: 1
; COMPUTE_PGM_RSRC2:TGID_Y_EN: 0
; COMPUTE_PGM_RSRC2:TGID_Z_EN: 0
; COMPUTE_PGM_RSRC2:TIDIG_COMP_CNT: 1
	.text
	.protected	_Z6Match8PKfS0_PfPi     ; -- Begin function _Z6Match8PKfS0_PfPi
	.globl	_Z6Match8PKfS0_PfPi
	.p2align	8
	.type	_Z6Match8PKfS0_PfPi,@function
_Z6Match8PKfS0_PfPi:                    ; @_Z6Match8PKfS0_PfPi
; %bb.0:
	v_and_b32_e32 v8, 0x3ff, v0
	v_bfe_u32 v9, v0, 10, 10
	s_delay_alu instid0(VALU_DEP_1) | instskip(NEXT) | instid1(VALU_DEP_1)
	v_or_b32_e32 v0, v8, v9
	v_cmp_gt_u32_e32 vcc_lo, 32, v0
	v_cmp_lt_u32_e64 s2, 31, v0
	v_lshlrev_b32_e32 v0, 5, v9
	s_delay_alu instid0(VALU_DEP_2) | instskip(NEXT) | instid1(SALU_CYCLE_1)
	s_and_saveexec_b32 s3, s2
	s_xor_b32 s2, exec_lo, s3
; %bb.1:
	v_lshlrev_b32_e32 v0, 5, v9
; %bb.2:
	s_or_saveexec_b32 s10, s2
	s_clause 0x1
	s_load_b128 s[4:7], s[0:1], 0x8
	s_load_b64 s[8:9], s[0:1], 0x18
	s_xor_b32 exec_lo, exec_lo, s10
	s_cbranch_execz .LBB7_6
; %bb.3:
	s_load_b64 s[2:3], s[0:1], 0x0
	v_add_nc_u32_e32 v1, v9, v8
	v_lshl_add_u32 v2, s15, 10, v0
	v_dual_mov_b32 v3, v0 :: v_dual_mov_b32 v4, v9
	s_mov_b32 s1, 0
	.p2align	6
.LBB7_4:                                ; =>This Inner Loop Header: Depth=1
	s_delay_alu instid0(VALU_DEP_2) | instskip(SKIP_1) | instid1(VALU_DEP_2)
	v_add_nc_u32_e32 v5, v8, v2
	v_add_nc_u32_e32 v2, 0x100, v2
	v_ashrrev_i32_e32 v6, 31, v5
	s_delay_alu instid0(VALU_DEP_1) | instskip(SKIP_1) | instid1(VALU_DEP_1)
	v_lshlrev_b64 v[5:6], 4, v[5:6]
	s_waitcnt lgkmcnt(0)
	v_add_co_u32 v5, s0, s2, v5
	s_delay_alu instid0(VALU_DEP_1)
	v_add_co_ci_u32_e64 v6, s0, s3, v6, s0
	v_cmp_lt_u32_e64 s0, 23, v4
	global_load_b128 v[10:13], v[5:6], off
	v_and_b32_e32 v5, 31, v1
	v_add_nc_u32_e32 v6, 8, v4
	v_add_nc_u16 v1, v1, 8
	s_or_b32 s1, s0, s1
	s_delay_alu instid0(VALU_DEP_3) | instskip(NEXT) | instid1(VALU_DEP_3)
	v_add_lshl_u32 v5, v3, v5, 4
	v_dual_mov_b32 v4, v6 :: v_dual_add_nc_u32 v3, 0x100, v3
	s_waitcnt vmcnt(0)
	ds_store_b128 v5, v[10:13]
	s_and_not1_b32 exec_lo, exec_lo, s1
	s_cbranch_execnz .LBB7_4
; %bb.5:
	s_or_b32 exec_lo, exec_lo, s1
.LBB7_6:
	s_delay_alu instid0(SALU_CYCLE_1) | instskip(SKIP_4) | instid1(VALU_DEP_2)
	s_or_b32 exec_lo, exec_lo, s10
	v_dual_mov_b32 v1, 0 :: v_dual_add_nc_u32 v0, v0, v8
	s_mov_b32 s2, -1
	v_add_nc_u32_e32 v15, -8, v9
	s_mov_b32 s3, s2
	v_lshrrev_b32_e32 v11, 4, v0
	v_cmp_gt_u32_e64 s0, 0x80, v0
	v_lshlrev_b64 v[0:1], 4, v[0:1]
	v_lshlrev_b32_e32 v2, 9, v9
	s_delay_alu instid0(VALU_DEP_4) | instskip(SKIP_2) | instid1(VALU_DEP_4)
	v_lshlrev_b32_e32 v13, 2, v11
	v_lshl_add_u32 v17, v11, 11, 0x4000
	s_waitcnt lgkmcnt(0)
	v_add_co_u32 v0, s1, s4, v0
	s_mov_b32 s4, 0
	v_add_co_ci_u32_e64 v1, s1, s5, v1, s1
	s_mov_b32 s5, s4
	v_and_b32_e32 v10, 15, v8
	v_dual_mov_b32 v4, s4 :: v_dual_lshlrev_b32 v3, 4, v8
	s_delay_alu instid0(VALU_DEP_2) | instskip(NEXT) | instid1(VALU_DEP_2)
	v_dual_mov_b32 v5, s5 :: v_dual_lshlrev_b32 v12, 5, v10
	v_add3_u32 v16, v2, v3, 0x4000
	v_dual_mov_b32 v2, s2 :: v_dual_mov_b32 v3, s3
	s_delay_alu instid0(VALU_DEP_3)
	v_or_b32_e32 v14, 0x200, v12
	s_and_saveexec_b32 s3, vcc_lo
	s_cbranch_execz .LBB7_9
.LBB7_7:
	v_dual_mov_b32 v7, v1 :: v_dual_mov_b32 v6, v0
	v_dual_mov_b32 v18, v16 :: v_dual_mov_b32 v19, v15
	s_mov_b32 s5, 0
	.p2align	6
.LBB7_8:                                ; =>This Inner Loop Header: Depth=1
	global_load_b128 v[20:23], v[6:7], off
	v_add_nc_u32_e32 v19, 8, v19
	v_add_co_u32 v6, s1, 0x1000, v6
	s_delay_alu instid0(VALU_DEP_1) | instskip(NEXT) | instid1(VALU_DEP_3)
	v_add_co_ci_u32_e64 v7, s1, 0, v7, s1
	v_cmp_lt_u32_e64 s2, 23, v19
	s_delay_alu instid0(VALU_DEP_1)
	s_or_b32 s5, s2, s5
	s_waitcnt vmcnt(0)
	ds_store_b128 v18, v[20:23]
	v_add_nc_u32_e32 v18, 0x1000, v18
	s_and_not1_b32 exec_lo, exec_lo, s5
	s_cbranch_execnz .LBB7_8
.LBB7_9:                                ; =>This Loop Header: Depth=1
                                        ;     Child Loop BB7_11 Depth 2
	s_or_b32 exec_lo, exec_lo, s3
	s_waitcnt lgkmcnt(0)
	s_barrier
	buffer_gl0_inv
	s_and_saveexec_b32 s3, s0
	s_cbranch_execz .LBB7_13
; %bb.10:                               ;   in Loop: Header=BB7_9 Depth=1
	v_dual_mov_b32 v22, 0 :: v_dual_mov_b32 v23, 0
	v_dual_mov_b32 v24, v10 :: v_dual_mov_b32 v21, 0
	;; [unrolled: 1-line block ×4, first 2 shown]
	v_mov_b32_e32 v6, 0
	s_mov_b32 s1, 0
.LBB7_11:                               ;   Parent Loop BB7_9 Depth=1
                                        ; =>  This Inner Loop Header: Depth=2
	v_and_b32_e32 v25, 31, v24
	v_add_nc_u32_e32 v37, s1, v17
	s_add_i32 s1, s1, 16
	s_delay_alu instid0(SALU_CYCLE_1) | instskip(NEXT) | instid1(VALU_DEP_2)
	s_cmpk_eq_i32 s1, 0x200
	v_or_b32_e32 v41, v25, v12
	v_or_b32_e32 v42, v25, v14
	ds_load_b128 v[25:28], v37
	ds_load_b128 v[29:32], v37 offset:512
	ds_load_b128 v[33:36], v37 offset:1024
	ds_load_b128 v[37:40], v37 offset:1536
	v_lshlrev_b32_e32 v41, 4, v41
	v_xor_b32_e32 v45, 16, v42
	ds_load_b128 v[41:44], v41
	v_lshlrev_b32_e32 v45, 4, v45
	ds_load_b128 v[45:48], v45
	s_waitcnt lgkmcnt(1)
	v_dual_fmac_f32 v21, v29, v41 :: v_dual_add_nc_u32 v24, 1, v24
	s_delay_alu instid0(VALU_DEP_1) | instskip(NEXT) | instid1(VALU_DEP_1)
	v_dual_fmac_f32 v22, v25, v41 :: v_dual_fmac_f32 v21, v30, v42
	v_fmac_f32_e32 v22, v26, v42
	s_waitcnt lgkmcnt(0)
	v_fmac_f32_e32 v6, v37, v45
	s_delay_alu instid0(VALU_DEP_2) | instskip(NEXT) | instid1(VALU_DEP_2)
	v_dual_fmac_f32 v19, v33, v41 :: v_dual_fmac_f32 v22, v27, v43
	v_fmac_f32_e32 v6, v38, v46
	s_delay_alu instid0(VALU_DEP_2) | instskip(NEXT) | instid1(VALU_DEP_3)
	v_dual_fmac_f32 v20, v29, v45 :: v_dual_fmac_f32 v19, v34, v42
	v_dual_fmac_f32 v7, v37, v41 :: v_dual_fmac_f32 v22, v28, v44
	v_fmac_f32_e32 v18, v33, v45
	s_delay_alu instid0(VALU_DEP_3) | instskip(NEXT) | instid1(VALU_DEP_3)
	v_dual_fmac_f32 v20, v30, v46 :: v_dual_fmac_f32 v23, v25, v45
	v_dual_fmac_f32 v7, v38, v42 :: v_dual_fmac_f32 v6, v39, v47
	s_delay_alu instid0(VALU_DEP_3) | instskip(NEXT) | instid1(VALU_DEP_3)
	v_fmac_f32_e32 v18, v34, v46
	v_fmac_f32_e32 v20, v31, v47
	;; [unrolled: 1-line block ×4, first 2 shown]
	v_dual_fmac_f32 v7, v39, v43 :: v_dual_fmac_f32 v6, v40, v48
	v_fmac_f32_e32 v18, v35, v47
	v_dual_fmac_f32 v19, v35, v43 :: v_dual_fmac_f32 v20, v32, v48
	v_fmac_f32_e32 v21, v32, v44
	s_delay_alu instid0(VALU_DEP_3) | instskip(NEXT) | instid1(VALU_DEP_3)
	v_dual_fmac_f32 v23, v27, v47 :: v_dual_fmac_f32 v18, v36, v48
	v_fmac_f32_e32 v19, v36, v44
	v_fmac_f32_e32 v7, v40, v44
	s_delay_alu instid0(VALU_DEP_3)
	v_fmac_f32_e32 v23, v28, v48
	s_cbranch_scc0 .LBB7_11
; %bb.12:                               ;   in Loop: Header=BB7_9 Depth=1
	v_cmp_gt_f32_e64 s1, v22, v4
	v_or_b32_e32 v24, s4, v13
	s_delay_alu instid0(VALU_DEP_2) | instskip(SKIP_1) | instid1(VALU_DEP_3)
	v_cndmask_b32_e64 v5, v5, v5, s1
	v_cndmask_b32_e64 v4, v4, v22, s1
	;; [unrolled: 1-line block ×3, first 2 shown]
	v_or_b32_e32 v22, 1, v24
	s_delay_alu instid0(VALU_DEP_4) | instskip(NEXT) | instid1(VALU_DEP_4)
	v_cmp_gt_f32_e64 s2, v23, v5
	v_cmp_gt_f32_e64 s1, v21, v4
	s_delay_alu instid0(VALU_DEP_2) | instskip(SKIP_1) | instid1(VALU_DEP_3)
	v_cndmask_b32_e64 v5, v5, v23, s2
	v_cndmask_b32_e64 v3, v3, v24, s2
	;; [unrolled: 1-line block ×4, first 2 shown]
	s_delay_alu instid0(VALU_DEP_4) | instskip(NEXT) | instid1(VALU_DEP_3)
	v_cmp_gt_f32_e64 s2, v20, v5
	v_cmp_gt_f32_e64 s1, v19, v4
	s_delay_alu instid0(VALU_DEP_2) | instskip(SKIP_2) | instid1(VALU_DEP_4)
	v_cndmask_b32_e64 v5, v5, v20, s2
	v_cndmask_b32_e64 v3, v3, v22, s2
	v_or_b32_e32 v20, 2, v24
	v_cndmask_b32_e64 v4, v4, v19, s1
	s_delay_alu instid0(VALU_DEP_4) | instskip(NEXT) | instid1(VALU_DEP_3)
	v_cmp_gt_f32_e64 s2, v18, v5
	v_cndmask_b32_e64 v2, v2, v20, s1
	s_delay_alu instid0(VALU_DEP_3) | instskip(NEXT) | instid1(VALU_DEP_3)
	v_cmp_gt_f32_e64 s1, v7, v4
	v_cndmask_b32_e64 v5, v5, v18, s2
	v_cndmask_b32_e64 v3, v3, v20, s2
	v_or_b32_e32 v18, 3, v24
	s_delay_alu instid0(VALU_DEP_4) | instskip(NEXT) | instid1(VALU_DEP_4)
	v_cndmask_b32_e64 v4, v4, v7, s1
	v_cmp_gt_f32_e64 s2, v6, v5
	s_delay_alu instid0(VALU_DEP_3) | instskip(NEXT) | instid1(VALU_DEP_2)
	v_cndmask_b32_e64 v2, v2, v18, s1
	v_cndmask_b32_e64 v3, v3, v18, s2
	;; [unrolled: 1-line block ×3, first 2 shown]
.LBB7_13:                               ;   in Loop: Header=BB7_9 Depth=1
	s_or_b32 exec_lo, exec_lo, s3
	v_add_co_u32 v0, s1, 0x4000, v0
	s_delay_alu instid0(VALU_DEP_1)
	v_add_co_ci_u32_e64 v1, s1, 0, v1, s1
	s_add_i32 s1, s4, 32
	s_cmpk_gt_u32 s4, 0x3fdf
	s_barrier
	buffer_gl0_inv
	s_cbranch_scc1 .LBB7_15
; %bb.14:                               ;   in Loop: Header=BB7_9 Depth=1
	s_mov_b32 s4, s1
	s_and_saveexec_b32 s3, vcc_lo
	s_cbranch_execnz .LBB7_7
	s_branch .LBB7_9
.LBB7_15:
	s_and_saveexec_b32 s1, s0
	s_cbranch_execz .LBB7_17
; %bb.16:
	v_lshlrev_b32_e32 v0, 2, v10
	s_delay_alu instid0(VALU_DEP_1) | instskip(NEXT) | instid1(VALU_DEP_1)
	v_lshl_or_b32 v0, v11, 7, v0
	v_add_nc_u32_e32 v1, 0x400, v0
	ds_store_2addr_b32 v0, v4, v5 offset1:16
	ds_store_2addr_b32 v1, v2, v3 offset1:16
.LBB7_17:
	s_or_b32 exec_lo, exec_lo, s1
	s_waitcnt lgkmcnt(0)
	s_barrier
	buffer_gl0_inv
	s_mov_b32 s0, exec_lo
	v_cmpx_eq_u32_e32 0, v9
	s_cbranch_execz .LBB7_19
; %bb.18:
	v_add_nc_u32_e32 v7, 32, v8
	v_lshlrev_b32_e32 v6, 2, v8
	ds_load_2addr_b32 v[0:1], v6 offset1:32
	ds_load_2addr_b32 v[2:3], v6 offset0:64 offset1:96
	ds_load_2addr_b32 v[4:5], v6 offset0:128 offset1:160
	s_waitcnt lgkmcnt(2)
	v_cmp_gt_f32_e32 vcc_lo, v1, v0
	v_cndmask_b32_e32 v0, v0, v1, vcc_lo
	v_cndmask_b32_e32 v7, v8, v7, vcc_lo
	s_waitcnt lgkmcnt(1)
	s_delay_alu instid0(VALU_DEP_2)
	v_cmp_gt_f32_e32 vcc_lo, v2, v0
	v_dual_cndmask_b32 v2, v0, v2 :: v_dual_add_nc_u32 v9, 64, v8
	ds_load_2addr_b32 v[0:1], v6 offset0:192 offset1:224
	v_cndmask_b32_e32 v6, v7, v9, vcc_lo
	v_cmp_gt_f32_e32 vcc_lo, v3, v2
	v_dual_cndmask_b32 v2, v2, v3 :: v_dual_add_nc_u32 v3, 0x80, v8
	v_add_nc_u32_e32 v10, 0x60, v8
	s_delay_alu instid0(VALU_DEP_1) | instskip(SKIP_1) | instid1(VALU_DEP_3)
	v_cndmask_b32_e32 v6, v6, v10, vcc_lo
	s_waitcnt lgkmcnt(1)
	v_cmp_gt_f32_e32 vcc_lo, v4, v2
	v_cndmask_b32_e32 v2, v2, v4, vcc_lo
	s_delay_alu instid0(VALU_DEP_3) | instskip(NEXT) | instid1(VALU_DEP_2)
	v_dual_cndmask_b32 v3, v6, v3 :: v_dual_add_nc_u32 v4, 0xa0, v8
	v_cmp_gt_f32_e32 vcc_lo, v5, v2
	s_delay_alu instid0(VALU_DEP_2) | instskip(SKIP_2) | instid1(VALU_DEP_2)
	v_dual_cndmask_b32 v2, v2, v5 :: v_dual_cndmask_b32 v3, v3, v4
	v_add_nc_u32_e32 v5, 0xc0, v8
	s_waitcnt lgkmcnt(0)
	v_cmp_gt_f32_e32 vcc_lo, v0, v2
	v_cndmask_b32_e32 v0, v2, v0, vcc_lo
	s_delay_alu instid0(VALU_DEP_3) | instskip(NEXT) | instid1(VALU_DEP_2)
	v_dual_cndmask_b32 v3, v3, v5 :: v_dual_add_nc_u32 v2, 0xe0, v8
	v_cmp_gt_f32_e32 vcc_lo, v1, v0
	s_delay_alu instid0(VALU_DEP_2) | instskip(SKIP_1) | instid1(VALU_DEP_2)
	v_dual_cndmask_b32 v4, v0, v1 :: v_dual_cndmask_b32 v1, v3, v2
	v_lshl_add_u32 v0, s15, 5, v8
	v_lshlrev_b32_e32 v2, 2, v1
	s_delay_alu instid0(VALU_DEP_2) | instskip(SKIP_2) | instid1(VALU_DEP_1)
	v_ashrrev_i32_e32 v1, 31, v0
	ds_load_b32 v5, v2 offset:1024
	v_lshlrev_b64 v[0:1], 2, v[0:1]
	v_add_co_u32 v2, vcc_lo, s6, v0
	s_delay_alu instid0(VALU_DEP_2)
	v_add_co_ci_u32_e32 v3, vcc_lo, s7, v1, vcc_lo
	v_add_co_u32 v0, vcc_lo, s8, v0
	v_add_co_ci_u32_e32 v1, vcc_lo, s9, v1, vcc_lo
	global_store_b32 v[2:3], v4, off
	s_waitcnt lgkmcnt(0)
	global_store_b32 v[0:1], v5, off
.LBB7_19:
	s_nop 0
	s_sendmsg sendmsg(MSG_DEALLOC_VGPRS)
	s_endpgm
	.section	.rodata,"a",@progbits
	.p2align	6, 0x0
	.amdhsa_kernel _Z6Match8PKfS0_PfPi
		.amdhsa_group_segment_fixed_size 32768
		.amdhsa_private_segment_fixed_size 0
		.amdhsa_kernarg_size 32
		.amdhsa_user_sgpr_count 15
		.amdhsa_user_sgpr_dispatch_ptr 0
		.amdhsa_user_sgpr_queue_ptr 0
		.amdhsa_user_sgpr_kernarg_segment_ptr 1
		.amdhsa_user_sgpr_dispatch_id 0
		.amdhsa_user_sgpr_private_segment_size 0
		.amdhsa_wavefront_size32 1
		.amdhsa_uses_dynamic_stack 0
		.amdhsa_enable_private_segment 0
		.amdhsa_system_sgpr_workgroup_id_x 1
		.amdhsa_system_sgpr_workgroup_id_y 0
		.amdhsa_system_sgpr_workgroup_id_z 0
		.amdhsa_system_sgpr_workgroup_info 0
		.amdhsa_system_vgpr_workitem_id 1
		.amdhsa_next_free_vgpr 49
		.amdhsa_next_free_sgpr 16
		.amdhsa_reserve_vcc 1
		.amdhsa_float_round_mode_32 0
		.amdhsa_float_round_mode_16_64 0
		.amdhsa_float_denorm_mode_32 3
		.amdhsa_float_denorm_mode_16_64 3
		.amdhsa_dx10_clamp 1
		.amdhsa_ieee_mode 1
		.amdhsa_fp16_overflow 0
		.amdhsa_workgroup_processor_mode 1
		.amdhsa_memory_ordered 1
		.amdhsa_forward_progress 0
		.amdhsa_shared_vgpr_count 0
		.amdhsa_exception_fp_ieee_invalid_op 0
		.amdhsa_exception_fp_denorm_src 0
		.amdhsa_exception_fp_ieee_div_zero 0
		.amdhsa_exception_fp_ieee_overflow 0
		.amdhsa_exception_fp_ieee_underflow 0
		.amdhsa_exception_fp_ieee_inexact 0
		.amdhsa_exception_int_div_zero 0
	.end_amdhsa_kernel
	.text
.Lfunc_end7:
	.size	_Z6Match8PKfS0_PfPi, .Lfunc_end7-_Z6Match8PKfS0_PfPi
                                        ; -- End function
	.section	.AMDGPU.csdata,"",@progbits
; Kernel info:
; codeLenInByte = 1560
; NumSgprs: 18
; NumVgprs: 49
; ScratchSize: 0
; MemoryBound: 0
; FloatMode: 240
; IeeeMode: 1
; LDSByteSize: 32768 bytes/workgroup (compile time only)
; SGPRBlocks: 2
; VGPRBlocks: 6
; NumSGPRsForWavesPerEU: 18
; NumVGPRsForWavesPerEU: 49
; Occupancy: 16
; WaveLimiterHint : 0
; COMPUTE_PGM_RSRC2:SCRATCH_EN: 0
; COMPUTE_PGM_RSRC2:USER_SGPR: 15
; COMPUTE_PGM_RSRC2:TRAP_HANDLER: 0
; COMPUTE_PGM_RSRC2:TGID_X_EN: 1
; COMPUTE_PGM_RSRC2:TGID_Y_EN: 0
; COMPUTE_PGM_RSRC2:TGID_Z_EN: 0
; COMPUTE_PGM_RSRC2:TIDIG_COMP_CNT: 1
	.text
	.protected	_Z6Match9PKfS0_PfPi     ; -- Begin function _Z6Match9PKfS0_PfPi
	.globl	_Z6Match9PKfS0_PfPi
	.p2align	8
	.type	_Z6Match9PKfS0_PfPi,@function
_Z6Match9PKfS0_PfPi:                    ; @_Z6Match9PKfS0_PfPi
; %bb.0:
	v_and_b32_e32 v2, 0x3ff, v0
	v_bfe_u32 v3, v0, 10, 10
	s_delay_alu instid0(VALU_DEP_1) | instskip(NEXT) | instid1(VALU_DEP_1)
	v_or_b32_e32 v0, v2, v3
	v_cmp_gt_u32_e32 vcc_lo, 32, v0
	v_cmp_lt_u32_e64 s2, 31, v0
	v_lshlrev_b32_e32 v0, 5, v3
	s_delay_alu instid0(VALU_DEP_2) | instskip(NEXT) | instid1(SALU_CYCLE_1)
	s_and_saveexec_b32 s3, s2
	s_xor_b32 s2, exec_lo, s3
; %bb.1:
	v_lshlrev_b32_e32 v0, 5, v3
; %bb.2:
	s_or_saveexec_b32 s4, s2
	s_clause 0x1
	s_load_b128 s[16:19], s[0:1], 0x8
	s_load_b64 s[10:11], s[0:1], 0x18
	s_lshl_b32 s9, s15, 5
	s_xor_b32 exec_lo, exec_lo, s4
	s_cbranch_execz .LBB8_18
; %bb.3:
	v_or_b32_e32 v1, s9, v3
	s_load_b64 s[2:3], s[0:1], 0x0
	s_mov_b32 s1, exec_lo
	s_delay_alu instid0(VALU_DEP_1) | instskip(SKIP_1) | instid1(VALU_DEP_2)
	v_lshl_or_b32 v4, v1, 5, v2
	v_add_nc_u32_e32 v1, v3, v2
	v_ashrrev_i32_e32 v5, 31, v4
	s_delay_alu instid0(VALU_DEP_2) | instskip(NEXT) | instid1(VALU_DEP_2)
	v_and_or_b32 v1, v1, 31, v0
	v_lshlrev_b64 v[4:5], 4, v[4:5]
	s_delay_alu instid0(VALU_DEP_2) | instskip(SKIP_1) | instid1(VALU_DEP_2)
	v_lshlrev_b32_e32 v1, 4, v1
	s_waitcnt lgkmcnt(0)
	v_add_co_u32 v4, s0, s2, v4
	s_delay_alu instid0(VALU_DEP_1)
	v_add_co_ci_u32_e64 v5, s0, s3, v5, s0
	global_load_b128 v[4:7], v[4:5], off
	s_waitcnt vmcnt(0)
	ds_store_b128 v1, v[4:7]
	v_cmpx_gt_u32_e32 28, v3
	s_xor_b32 s1, exec_lo, s1
	s_cbranch_execz .LBB8_17
; %bb.4:
	v_add_nc_u32_e32 v1, 4, v3
	s_mov_b32 s5, exec_lo
	s_delay_alu instid0(VALU_DEP_1) | instskip(SKIP_1) | instid1(VALU_DEP_2)
	v_add_nc_u32_e32 v4, s9, v1
	v_add_nc_u32_e32 v8, v1, v2
	v_lshl_or_b32 v4, v4, 5, v2
	s_delay_alu instid0(VALU_DEP_2) | instskip(NEXT) | instid1(VALU_DEP_2)
	v_and_b32_e32 v8, 31, v8
	v_ashrrev_i32_e32 v5, 31, v4
	s_delay_alu instid0(VALU_DEP_2) | instskip(NEXT) | instid1(VALU_DEP_2)
	v_lshlrev_b32_e32 v8, 4, v8
	v_lshlrev_b64 v[4:5], 4, v[4:5]
	s_delay_alu instid0(VALU_DEP_2) | instskip(NEXT) | instid1(VALU_DEP_2)
	v_lshl_or_b32 v1, v1, 9, v8
	v_add_co_u32 v4, s0, s2, v4
	s_delay_alu instid0(VALU_DEP_1)
	v_add_co_ci_u32_e64 v5, s0, s3, v5, s0
	global_load_b128 v[4:7], v[4:5], off
	s_waitcnt vmcnt(0)
	ds_store_b128 v1, v[4:7]
	v_cmpx_gt_u32_e32 24, v3
	s_xor_b32 s5, exec_lo, s5
	s_cbranch_execz .LBB8_16
; %bb.5:
	v_add_nc_u32_e32 v1, 8, v3
	s_mov_b32 s6, exec_lo
	s_delay_alu instid0(VALU_DEP_1) | instskip(SKIP_1) | instid1(VALU_DEP_2)
	v_add_nc_u32_e32 v4, s9, v1
	v_add_nc_u32_e32 v8, v1, v2
	v_lshl_or_b32 v4, v4, 5, v2
	s_delay_alu instid0(VALU_DEP_2) | instskip(NEXT) | instid1(VALU_DEP_2)
	v_and_b32_e32 v8, 31, v8
	v_ashrrev_i32_e32 v5, 31, v4
	s_delay_alu instid0(VALU_DEP_2) | instskip(NEXT) | instid1(VALU_DEP_2)
	v_lshlrev_b32_e32 v8, 4, v8
	v_lshlrev_b64 v[4:5], 4, v[4:5]
	s_delay_alu instid0(VALU_DEP_2) | instskip(NEXT) | instid1(VALU_DEP_2)
	v_lshl_or_b32 v1, v1, 9, v8
	;; [unrolled: 24-line block ×3, first 2 shown]
	v_add_co_u32 v4, s0, s2, v4
	s_delay_alu instid0(VALU_DEP_1)
	v_add_co_ci_u32_e64 v5, s0, s3, v5, s0
	global_load_b128 v[4:7], v[4:5], off
	s_waitcnt vmcnt(0)
	ds_store_b128 v1, v[4:7]
	v_cmpx_gt_u32_e32 16, v3
	s_xor_b32 s7, exec_lo, s7
	s_cbranch_execz .LBB8_14
; %bb.7:
	v_or_b32_e32 v1, 16, v3
	s_mov_b32 s8, exec_lo
	s_delay_alu instid0(VALU_DEP_1) | instskip(SKIP_1) | instid1(VALU_DEP_2)
	v_or_b32_e32 v4, s9, v1
	v_add_nc_u32_e32 v8, v1, v2
	v_lshl_or_b32 v4, v4, 5, v2
	s_delay_alu instid0(VALU_DEP_2) | instskip(NEXT) | instid1(VALU_DEP_2)
	v_and_b32_e32 v8, 31, v8
	v_ashrrev_i32_e32 v5, 31, v4
	s_delay_alu instid0(VALU_DEP_2) | instskip(NEXT) | instid1(VALU_DEP_2)
	v_lshlrev_b32_e32 v8, 4, v8
	v_lshlrev_b64 v[4:5], 4, v[4:5]
	s_delay_alu instid0(VALU_DEP_2) | instskip(NEXT) | instid1(VALU_DEP_2)
	v_lshl_or_b32 v8, v1, 9, v8
	v_add_co_u32 v4, s0, s2, v4
	s_delay_alu instid0(VALU_DEP_1)
	v_add_co_ci_u32_e64 v5, s0, s3, v5, s0
	global_load_b128 v[4:7], v[4:5], off
	s_waitcnt vmcnt(0)
	ds_store_b128 v8, v[4:7]
	v_cmpx_gt_u32_e32 28, v1
	s_xor_b32 s8, exec_lo, s8
	s_cbranch_execz .LBB8_13
; %bb.8:
	v_add_nc_u32_e32 v1, 20, v3
	s_mov_b32 s12, exec_lo
	s_delay_alu instid0(VALU_DEP_1) | instskip(SKIP_1) | instid1(VALU_DEP_2)
	v_add_nc_u32_e32 v4, s9, v1
	v_add_nc_u32_e32 v8, v1, v2
	v_lshl_or_b32 v4, v4, 5, v2
	s_delay_alu instid0(VALU_DEP_2) | instskip(NEXT) | instid1(VALU_DEP_2)
	v_and_b32_e32 v8, 31, v8
	v_ashrrev_i32_e32 v5, 31, v4
	s_delay_alu instid0(VALU_DEP_2) | instskip(NEXT) | instid1(VALU_DEP_2)
	v_lshlrev_b32_e32 v8, 4, v8
	v_lshlrev_b64 v[4:5], 4, v[4:5]
	s_delay_alu instid0(VALU_DEP_2) | instskip(NEXT) | instid1(VALU_DEP_2)
	v_lshl_or_b32 v1, v1, 9, v8
	v_add_co_u32 v4, s0, s2, v4
	s_delay_alu instid0(VALU_DEP_1)
	v_add_co_ci_u32_e64 v5, s0, s3, v5, s0
	global_load_b128 v[4:7], v[4:5], off
	s_waitcnt vmcnt(0)
	ds_store_b128 v1, v[4:7]
	v_cmpx_gt_u32_e32 8, v3
	s_xor_b32 s12, exec_lo, s12
	s_cbranch_execz .LBB8_12
; %bb.9:
	v_or_b32_e32 v1, 24, v3
	s_mov_b32 s13, exec_lo
	s_delay_alu instid0(VALU_DEP_1) | instskip(SKIP_1) | instid1(VALU_DEP_2)
	v_or_b32_e32 v4, s9, v1
	v_add_nc_u32_e32 v8, v1, v2
	v_lshl_or_b32 v4, v4, 5, v2
	s_delay_alu instid0(VALU_DEP_2) | instskip(NEXT) | instid1(VALU_DEP_2)
	v_and_b32_e32 v8, 31, v8
	v_ashrrev_i32_e32 v5, 31, v4
	s_delay_alu instid0(VALU_DEP_2) | instskip(NEXT) | instid1(VALU_DEP_2)
	v_lshlrev_b32_e32 v8, 4, v8
	v_lshlrev_b64 v[4:5], 4, v[4:5]
	s_delay_alu instid0(VALU_DEP_2) | instskip(NEXT) | instid1(VALU_DEP_2)
	v_lshl_or_b32 v8, v1, 9, v8
	v_add_co_u32 v4, s0, s2, v4
	s_delay_alu instid0(VALU_DEP_1)
	v_add_co_ci_u32_e64 v5, s0, s3, v5, s0
	global_load_b128 v[4:7], v[4:5], off
	s_waitcnt vmcnt(0)
	ds_store_b128 v8, v[4:7]
	v_cmpx_gt_u32_e32 28, v1
	s_xor_b32 s13, exec_lo, s13
	s_cbranch_execz .LBB8_11
; %bb.10:
	v_add_nc_u32_e32 v1, 28, v3
	s_delay_alu instid0(VALU_DEP_1) | instskip(SKIP_1) | instid1(VALU_DEP_2)
	v_add_nc_u32_e32 v4, s9, v1
	v_add_nc_u32_e32 v8, v1, v2
	v_lshl_or_b32 v4, v4, 5, v2
	s_delay_alu instid0(VALU_DEP_2) | instskip(NEXT) | instid1(VALU_DEP_2)
	v_and_b32_e32 v8, 31, v8
	v_ashrrev_i32_e32 v5, 31, v4
	s_delay_alu instid0(VALU_DEP_2) | instskip(NEXT) | instid1(VALU_DEP_2)
	v_lshlrev_b32_e32 v8, 4, v8
	v_lshlrev_b64 v[4:5], 4, v[4:5]
	s_delay_alu instid0(VALU_DEP_2) | instskip(NEXT) | instid1(VALU_DEP_2)
	v_lshl_or_b32 v1, v1, 9, v8
	v_add_co_u32 v4, s0, s2, v4
	s_delay_alu instid0(VALU_DEP_1)
	v_add_co_ci_u32_e64 v5, s0, s3, v5, s0
	global_load_b128 v[4:7], v[4:5], off
	s_waitcnt vmcnt(0)
	ds_store_b128 v1, v[4:7]
.LBB8_11:
	s_or_b32 exec_lo, exec_lo, s13
.LBB8_12:
	s_delay_alu instid0(SALU_CYCLE_1)
	s_or_b32 exec_lo, exec_lo, s12
.LBB8_13:
	s_delay_alu instid0(SALU_CYCLE_1)
	s_or_b32 exec_lo, exec_lo, s8
.LBB8_14:
	s_delay_alu instid0(SALU_CYCLE_1)
	s_or_b32 exec_lo, exec_lo, s7
.LBB8_15:
	s_delay_alu instid0(SALU_CYCLE_1)
	s_or_b32 exec_lo, exec_lo, s6
.LBB8_16:
	s_delay_alu instid0(SALU_CYCLE_1)
	s_or_b32 exec_lo, exec_lo, s5
.LBB8_17:
	s_delay_alu instid0(SALU_CYCLE_1)
	s_or_b32 exec_lo, exec_lo, s1
.LBB8_18:
	s_delay_alu instid0(SALU_CYCLE_1)
	s_or_b32 exec_lo, exec_lo, s4
	v_dual_mov_b32 v26, -1 :: v_dual_add_nc_u32 v5, v0, v2
	v_lshlrev_b32_e32 v1, 4, v2
	v_or_b32_e32 v0, v0, v2
	v_add_nc_u32_e32 v9, 8, v3
	v_or_b32_e32 v15, 16, v3
	v_dual_mov_b32 v27, 0 :: v_dual_and_b32 v4, 15, v2
	s_delay_alu instid0(VALU_DEP_4) | instskip(NEXT) | instid1(VALU_DEP_4)
	v_lshl_add_u32 v13, v0, 4, 0x4000
	v_lshl_or_b32 v0, v9, 9, v1
	v_dual_mov_b32 v28, 0 :: v_dual_add_nc_u32 v7, 4, v3
	v_add_nc_u32_e32 v12, 12, v3
	v_add_nc_u32_e32 v18, 20, v3
	s_delay_alu instid0(VALU_DEP_4)
	v_add_nc_u32_e32 v16, 0x4000, v0
	v_lshl_or_b32 v0, v15, 9, v1
	v_or_b32_e32 v19, 24, v3
	v_add_nc_u32_e32 v20, 28, v3
	v_lshrrev_b32_e32 v6, 4, v5
	v_lshlrev_b32_e32 v8, 5, v4
	v_lshl_or_b32 v14, v7, 9, v1
	v_lshl_or_b32 v17, v12, 9, v1
	;; [unrolled: 1-line block ×3, first 2 shown]
	v_add_nc_u32_e32 v21, 0x4000, v0
	v_lshl_or_b32 v0, v19, 9, v1
	v_lshl_or_b32 v1, v20, 9, v1
	v_dual_mov_b32 v29, -1 :: v_dual_lshlrev_b32 v10, 2, v6
	v_cmp_gt_u32_e64 s0, 28, v3
	v_add_nc_u32_e32 v14, 0x4000, v14
	v_cmp_gt_u32_e64 s1, 24, v3
	v_cmp_gt_u32_e64 s2, 20, v3
	v_add_nc_u32_e32 v17, 0x4000, v17
	v_cmp_gt_u32_e64 s3, 16, v3
	;; [unrolled: 3-line block ×3, first 2 shown]
	v_add_nc_u32_e32 v23, 0x4000, v0
	v_cmp_gt_u32_e64 s6, 28, v19
	v_add_nc_u32_e32 v24, 0x4000, v1
	v_lshl_add_u32 v25, v6, 11, 0x4000
	v_mov_b32_e32 v1, 0
	v_or_b32_e32 v11, 0x200, v8
	s_mov_b32 s12, 0
	s_and_saveexec_b32 s8, vcc_lo
	s_cbranch_execz .LBB8_27
.LBB8_19:
	v_or_b32_e32 v0, s12, v3
	s_delay_alu instid0(VALU_DEP_1) | instskip(NEXT) | instid1(VALU_DEP_1)
	v_lshl_or_b32 v0, v0, 5, v2
	v_lshlrev_b64 v[30:31], 4, v[0:1]
	s_waitcnt lgkmcnt(0)
	s_delay_alu instid0(VALU_DEP_1) | instskip(NEXT) | instid1(VALU_DEP_1)
	v_add_co_u32 v30, s7, s16, v30
	v_add_co_ci_u32_e64 v31, s7, s17, v31, s7
	global_load_b128 v[30:33], v[30:31], off
	s_waitcnt vmcnt(0)
	ds_store_b128 v13, v[30:33]
	s_and_saveexec_b32 s7, s0
	s_delay_alu instid0(SALU_CYCLE_1)
	s_xor_b32 s7, exec_lo, s7
	s_cbranch_execz .LBB8_27
; %bb.20:
	v_add_nc_u32_e32 v0, s12, v7
	s_delay_alu instid0(VALU_DEP_1) | instskip(NEXT) | instid1(VALU_DEP_1)
	v_lshl_or_b32 v0, v0, 5, v2
	v_lshlrev_b64 v[30:31], 4, v[0:1]
	s_delay_alu instid0(VALU_DEP_1) | instskip(NEXT) | instid1(VALU_DEP_1)
	v_add_co_u32 v30, s7, s16, v30
	v_add_co_ci_u32_e64 v31, s7, s17, v31, s7
	global_load_b128 v[30:33], v[30:31], off
	s_waitcnt vmcnt(0)
	ds_store_b128 v14, v[30:33]
	s_and_saveexec_b32 s7, s1
	s_delay_alu instid0(SALU_CYCLE_1)
	s_xor_b32 s7, exec_lo, s7
	s_cbranch_execz .LBB8_27
; %bb.21:
	v_add_nc_u32_e32 v0, s12, v9
	s_delay_alu instid0(VALU_DEP_1) | instskip(NEXT) | instid1(VALU_DEP_1)
	v_lshl_or_b32 v0, v0, 5, v2
	v_lshlrev_b64 v[30:31], 4, v[0:1]
	;; [unrolled: 15-line block ×3, first 2 shown]
	s_delay_alu instid0(VALU_DEP_1) | instskip(NEXT) | instid1(VALU_DEP_1)
	v_add_co_u32 v30, s7, s16, v30
	v_add_co_ci_u32_e64 v31, s7, s17, v31, s7
	global_load_b128 v[30:33], v[30:31], off
	s_waitcnt vmcnt(0)
	ds_store_b128 v17, v[30:33]
	s_and_saveexec_b32 s7, s3
	s_delay_alu instid0(SALU_CYCLE_1)
	s_xor_b32 s7, exec_lo, s7
	s_cbranch_execz .LBB8_27
; %bb.23:
	v_or_b32_e32 v0, s12, v15
	s_delay_alu instid0(VALU_DEP_1) | instskip(NEXT) | instid1(VALU_DEP_1)
	v_lshl_or_b32 v0, v0, 5, v2
	v_lshlrev_b64 v[30:31], 4, v[0:1]
	s_delay_alu instid0(VALU_DEP_1) | instskip(NEXT) | instid1(VALU_DEP_1)
	v_add_co_u32 v30, s7, s16, v30
	v_add_co_ci_u32_e64 v31, s7, s17, v31, s7
	global_load_b128 v[30:33], v[30:31], off
	s_waitcnt vmcnt(0)
	ds_store_b128 v21, v[30:33]
	s_and_saveexec_b32 s7, s4
	s_delay_alu instid0(SALU_CYCLE_1)
	s_xor_b32 s7, exec_lo, s7
	s_cbranch_execz .LBB8_27
; %bb.24:
	v_add_nc_u32_e32 v0, s12, v18
	s_delay_alu instid0(VALU_DEP_1) | instskip(NEXT) | instid1(VALU_DEP_1)
	v_lshl_or_b32 v0, v0, 5, v2
	v_lshlrev_b64 v[30:31], 4, v[0:1]
	s_delay_alu instid0(VALU_DEP_1) | instskip(NEXT) | instid1(VALU_DEP_1)
	v_add_co_u32 v30, s7, s16, v30
	v_add_co_ci_u32_e64 v31, s7, s17, v31, s7
	global_load_b128 v[30:33], v[30:31], off
	s_waitcnt vmcnt(0)
	ds_store_b128 v22, v[30:33]
	s_and_saveexec_b32 s7, s5
	s_delay_alu instid0(SALU_CYCLE_1)
	s_xor_b32 s7, exec_lo, s7
	s_cbranch_execz .LBB8_27
; %bb.25:
	v_or_b32_e32 v0, s12, v19
	s_delay_alu instid0(VALU_DEP_1) | instskip(NEXT) | instid1(VALU_DEP_1)
	v_lshl_or_b32 v0, v0, 5, v2
	v_lshlrev_b64 v[30:31], 4, v[0:1]
	s_delay_alu instid0(VALU_DEP_1) | instskip(NEXT) | instid1(VALU_DEP_1)
	v_add_co_u32 v30, s7, s16, v30
	v_add_co_ci_u32_e64 v31, s7, s17, v31, s7
	global_load_b128 v[30:33], v[30:31], off
	s_waitcnt vmcnt(0)
	ds_store_b128 v23, v[30:33]
	s_and_saveexec_b32 s7, s6
	s_delay_alu instid0(SALU_CYCLE_1)
	s_xor_b32 s7, exec_lo, s7
	s_cbranch_execz .LBB8_27
; %bb.26:
	v_add_nc_u32_e32 v0, s12, v20
	s_delay_alu instid0(VALU_DEP_1) | instskip(NEXT) | instid1(VALU_DEP_1)
	v_lshl_or_b32 v0, v0, 5, v2
	v_lshlrev_b64 v[30:31], 4, v[0:1]
	s_delay_alu instid0(VALU_DEP_1) | instskip(NEXT) | instid1(VALU_DEP_1)
	v_add_co_u32 v30, s7, s16, v30
	v_add_co_ci_u32_e64 v31, s7, s17, v31, s7
	global_load_b128 v[30:33], v[30:31], off
	s_waitcnt vmcnt(0)
	ds_store_b128 v24, v[30:33]
.LBB8_27:                               ; =>This Loop Header: Depth=1
                                        ;     Child Loop BB8_28 Depth 2
	s_or_b32 exec_lo, exec_lo, s8
	v_dual_mov_b32 v35, 0 :: v_dual_mov_b32 v36, 0
	v_dual_mov_b32 v37, v4 :: v_dual_mov_b32 v34, 0
	;; [unrolled: 1-line block ×4, first 2 shown]
	v_mov_b32_e32 v30, 0
	s_mov_b32 s7, 0
	s_waitcnt lgkmcnt(0)
	s_barrier
	buffer_gl0_inv
.LBB8_28:                               ;   Parent Loop BB8_27 Depth=1
                                        ; =>  This Inner Loop Header: Depth=2
	v_and_b32_e32 v38, 31, v37
	v_add_nc_u32_e32 v50, s7, v25
	s_add_i32 s7, s7, 16
	s_delay_alu instid0(SALU_CYCLE_1) | instskip(NEXT) | instid1(VALU_DEP_2)
	s_cmpk_eq_i32 s7, 0x200
	v_or_b32_e32 v54, v38, v8
	v_or_b32_e32 v55, v38, v11
	ds_load_b128 v[38:41], v50
	ds_load_b128 v[42:45], v50 offset:512
	ds_load_b128 v[46:49], v50 offset:1024
	;; [unrolled: 1-line block ×3, first 2 shown]
	v_lshlrev_b32_e32 v54, 4, v54
	v_xor_b32_e32 v58, 16, v55
	ds_load_b128 v[54:57], v54
	v_lshlrev_b32_e32 v58, 4, v58
	ds_load_b128 v[58:61], v58
	s_waitcnt lgkmcnt(1)
	v_dual_fmac_f32 v0, v50, v54 :: v_dual_add_nc_u32 v37, 1, v37
	v_fmac_f32_e32 v35, v38, v54
	v_fmac_f32_e32 v33, v42, v54
	s_delay_alu instid0(VALU_DEP_3) | instskip(SKIP_1) | instid1(VALU_DEP_3)
	v_dual_fmac_f32 v31, v46, v54 :: v_dual_fmac_f32 v0, v51, v55
	s_waitcnt lgkmcnt(0)
	v_dual_fmac_f32 v35, v39, v55 :: v_dual_fmac_f32 v36, v38, v58
	s_delay_alu instid0(VALU_DEP_2) | instskip(SKIP_1) | instid1(VALU_DEP_3)
	v_fmac_f32_e32 v31, v47, v55
	v_dual_fmac_f32 v33, v43, v55 :: v_dual_fmac_f32 v34, v42, v58
	v_dual_fmac_f32 v35, v40, v56 :: v_dual_fmac_f32 v32, v46, v58
	s_delay_alu instid0(VALU_DEP_3) | instskip(NEXT) | instid1(VALU_DEP_2)
	v_dual_fmac_f32 v30, v50, v58 :: v_dual_fmac_f32 v31, v48, v56
	v_dual_fmac_f32 v36, v39, v59 :: v_dual_fmac_f32 v35, v41, v57
	s_delay_alu instid0(VALU_DEP_4) | instskip(NEXT) | instid1(VALU_DEP_3)
	v_dual_fmac_f32 v33, v44, v56 :: v_dual_fmac_f32 v34, v43, v59
	v_dual_fmac_f32 v32, v47, v59 :: v_dual_fmac_f32 v31, v49, v57
	s_delay_alu instid0(VALU_DEP_4) | instskip(SKIP_1) | instid1(VALU_DEP_4)
	v_fmac_f32_e32 v30, v51, v59
	v_fmac_f32_e32 v0, v52, v56
	v_dual_fmac_f32 v36, v40, v60 :: v_dual_fmac_f32 v33, v45, v57
	v_fmac_f32_e32 v34, v44, v60
	v_fmac_f32_e32 v32, v48, v60
	;; [unrolled: 1-line block ×8, first 2 shown]
	s_cbranch_scc0 .LBB8_28
; %bb.29:                               ;   in Loop: Header=BB8_27 Depth=1
	v_cmp_gt_f32_e64 s7, v35, v27
	v_cmp_gt_f32_e64 s8, v36, v28
	v_add_nc_u32_e32 v37, s12, v10
	s_barrier
	s_delay_alu instid0(VALU_DEP_3) | instskip(NEXT) | instid1(VALU_DEP_3)
	v_cndmask_b32_e64 v27, v27, v35, s7
	v_cndmask_b32_e64 v28, v28, v36, s8
	s_delay_alu instid0(VALU_DEP_3)
	v_cndmask_b32_e64 v26, v26, v37, s7
	v_cndmask_b32_e64 v29, v29, v37, s8
	v_or_b32_e32 v35, 1, v37
	v_cmp_gt_f32_e64 s7, v33, v27
	v_cmp_gt_f32_e64 s8, v34, v28
	buffer_gl0_inv
	v_cndmask_b32_e64 v27, v27, v33, s7
	v_cndmask_b32_e64 v28, v28, v34, s8
	;; [unrolled: 1-line block ×4, first 2 shown]
	v_or_b32_e32 v33, 2, v37
	v_cmp_gt_f32_e64 s7, v31, v27
	v_cmp_gt_f32_e64 s8, v32, v28
	s_delay_alu instid0(VALU_DEP_2) | instskip(NEXT) | instid1(VALU_DEP_2)
	v_cndmask_b32_e64 v27, v27, v31, s7
	v_cndmask_b32_e64 v28, v28, v32, s8
	;; [unrolled: 1-line block ×4, first 2 shown]
	v_or_b32_e32 v31, 3, v37
	v_cmp_gt_f32_e64 s7, v0, v27
	v_cmp_gt_f32_e64 s8, v30, v28
	s_delay_alu instid0(VALU_DEP_2) | instskip(NEXT) | instid1(VALU_DEP_2)
	v_cndmask_b32_e64 v26, v26, v31, s7
	v_cndmask_b32_e64 v29, v29, v31, s8
	;; [unrolled: 1-line block ×4, first 2 shown]
	s_add_i32 s7, s12, 32
	s_cmpk_gt_u32 s12, 0x3fdf
	s_cbranch_scc1 .LBB8_31
; %bb.30:                               ;   in Loop: Header=BB8_27 Depth=1
	s_mov_b32 s12, s7
	s_and_saveexec_b32 s8, vcc_lo
	s_cbranch_execnz .LBB8_19
	s_branch .LBB8_27
.LBB8_31:
	s_mov_b32 s0, exec_lo
	v_cmpx_gt_u32_e32 0x80, v5
	s_cbranch_execz .LBB8_33
; %bb.32:
	v_lshlrev_b32_e32 v0, 2, v4
	s_delay_alu instid0(VALU_DEP_1) | instskip(NEXT) | instid1(VALU_DEP_1)
	v_lshl_or_b32 v0, v6, 7, v0
	v_add_nc_u32_e32 v1, 0x400, v0
	ds_store_2addr_b32 v0, v27, v28 offset1:16
	ds_store_2addr_b32 v1, v26, v29 offset1:16
.LBB8_33:
	s_or_b32 exec_lo, exec_lo, s0
	s_waitcnt lgkmcnt(0)
	s_barrier
	buffer_gl0_inv
	s_mov_b32 s0, exec_lo
	v_cmpx_eq_u32_e32 0, v3
	s_cbranch_execz .LBB8_35
; %bb.34:
	v_lshlrev_b32_e32 v7, 2, v2
	ds_load_2addr_b32 v[0:1], v7 offset1:32
	ds_load_2addr_b32 v[3:4], v7 offset0:64 offset1:96
	ds_load_2addr_b32 v[5:6], v7 offset0:128 offset1:160
	s_waitcnt lgkmcnt(2)
	v_cmp_gt_f32_e32 vcc_lo, v1, v0
	v_cndmask_b32_e32 v0, v0, v1, vcc_lo
	v_add_nc_u32_e32 v8, 32, v2
	s_delay_alu instid0(VALU_DEP_1) | instskip(SKIP_1) | instid1(VALU_DEP_3)
	v_dual_cndmask_b32 v8, v2, v8 :: v_dual_add_nc_u32 v9, 64, v2
	s_waitcnt lgkmcnt(1)
	v_cmp_gt_f32_e32 vcc_lo, v3, v0
	v_dual_cndmask_b32 v3, v0, v3 :: v_dual_add_nc_u32 v10, 0x60, v2
	ds_load_2addr_b32 v[0:1], v7 offset0:192 offset1:224
	v_cndmask_b32_e32 v7, v8, v9, vcc_lo
	v_cmp_gt_f32_e32 vcc_lo, v4, v3
	v_dual_cndmask_b32 v3, v3, v4 :: v_dual_add_nc_u32 v4, 0x80, v2
	s_delay_alu instid0(VALU_DEP_3) | instskip(SKIP_1) | instid1(VALU_DEP_2)
	v_cndmask_b32_e32 v7, v7, v10, vcc_lo
	s_waitcnt lgkmcnt(1)
	v_cmp_gt_f32_e32 vcc_lo, v5, v3
	v_cndmask_b32_e32 v3, v3, v5, vcc_lo
	s_delay_alu instid0(VALU_DEP_3) | instskip(NEXT) | instid1(VALU_DEP_2)
	v_dual_cndmask_b32 v4, v7, v4 :: v_dual_add_nc_u32 v5, 0xa0, v2
	v_cmp_gt_f32_e32 vcc_lo, v6, v3
	s_delay_alu instid0(VALU_DEP_2) | instskip(SKIP_2) | instid1(VALU_DEP_2)
	v_dual_cndmask_b32 v3, v3, v6 :: v_dual_cndmask_b32 v4, v4, v5
	v_add_nc_u32_e32 v6, 0xc0, v2
	s_waitcnt lgkmcnt(0)
	v_cmp_gt_f32_e32 vcc_lo, v0, v3
	v_dual_cndmask_b32 v0, v3, v0 :: v_dual_add_nc_u32 v3, 0xe0, v2
	s_delay_alu instid0(VALU_DEP_3) | instskip(NEXT) | instid1(VALU_DEP_2)
	v_cndmask_b32_e32 v4, v4, v6, vcc_lo
	v_cmp_gt_f32_e32 vcc_lo, v1, v0
	v_dual_cndmask_b32 v5, v0, v1 :: v_dual_add_nc_u32 v0, s9, v2
	s_delay_alu instid0(VALU_DEP_3) | instskip(NEXT) | instid1(VALU_DEP_1)
	v_cndmask_b32_e32 v1, v4, v3, vcc_lo
	v_lshlrev_b32_e32 v2, 2, v1
	s_delay_alu instid0(VALU_DEP_3) | instskip(SKIP_2) | instid1(VALU_DEP_1)
	v_ashrrev_i32_e32 v1, 31, v0
	ds_load_b32 v4, v2 offset:1024
	v_lshlrev_b64 v[0:1], 2, v[0:1]
	v_add_co_u32 v2, vcc_lo, s18, v0
	s_delay_alu instid0(VALU_DEP_2)
	v_add_co_ci_u32_e32 v3, vcc_lo, s19, v1, vcc_lo
	v_add_co_u32 v0, vcc_lo, s10, v0
	v_add_co_ci_u32_e32 v1, vcc_lo, s11, v1, vcc_lo
	global_store_b32 v[2:3], v5, off
	s_waitcnt lgkmcnt(0)
	global_store_b32 v[0:1], v4, off
.LBB8_35:
	s_nop 0
	s_sendmsg sendmsg(MSG_DEALLOC_VGPRS)
	s_endpgm
	.section	.rodata,"a",@progbits
	.p2align	6, 0x0
	.amdhsa_kernel _Z6Match9PKfS0_PfPi
		.amdhsa_group_segment_fixed_size 32768
		.amdhsa_private_segment_fixed_size 0
		.amdhsa_kernarg_size 32
		.amdhsa_user_sgpr_count 15
		.amdhsa_user_sgpr_dispatch_ptr 0
		.amdhsa_user_sgpr_queue_ptr 0
		.amdhsa_user_sgpr_kernarg_segment_ptr 1
		.amdhsa_user_sgpr_dispatch_id 0
		.amdhsa_user_sgpr_private_segment_size 0
		.amdhsa_wavefront_size32 1
		.amdhsa_uses_dynamic_stack 0
		.amdhsa_enable_private_segment 0
		.amdhsa_system_sgpr_workgroup_id_x 1
		.amdhsa_system_sgpr_workgroup_id_y 0
		.amdhsa_system_sgpr_workgroup_id_z 0
		.amdhsa_system_sgpr_workgroup_info 0
		.amdhsa_system_vgpr_workitem_id 1
		.amdhsa_next_free_vgpr 62
		.amdhsa_next_free_sgpr 20
		.amdhsa_reserve_vcc 1
		.amdhsa_float_round_mode_32 0
		.amdhsa_float_round_mode_16_64 0
		.amdhsa_float_denorm_mode_32 3
		.amdhsa_float_denorm_mode_16_64 3
		.amdhsa_dx10_clamp 1
		.amdhsa_ieee_mode 1
		.amdhsa_fp16_overflow 0
		.amdhsa_workgroup_processor_mode 1
		.amdhsa_memory_ordered 1
		.amdhsa_forward_progress 0
		.amdhsa_shared_vgpr_count 0
		.amdhsa_exception_fp_ieee_invalid_op 0
		.amdhsa_exception_fp_denorm_src 0
		.amdhsa_exception_fp_ieee_div_zero 0
		.amdhsa_exception_fp_ieee_overflow 0
		.amdhsa_exception_fp_ieee_underflow 0
		.amdhsa_exception_fp_ieee_inexact 0
		.amdhsa_exception_int_div_zero 0
	.end_amdhsa_kernel
	.text
.Lfunc_end8:
	.size	_Z6Match9PKfS0_PfPi, .Lfunc_end8-_Z6Match9PKfS0_PfPi
                                        ; -- End function
	.section	.AMDGPU.csdata,"",@progbits
; Kernel info:
; codeLenInByte = 2984
; NumSgprs: 22
; NumVgprs: 62
; ScratchSize: 0
; MemoryBound: 0
; FloatMode: 240
; IeeeMode: 1
; LDSByteSize: 32768 bytes/workgroup (compile time only)
; SGPRBlocks: 2
; VGPRBlocks: 7
; NumSGPRsForWavesPerEU: 22
; NumVGPRsForWavesPerEU: 62
; Occupancy: 16
; WaveLimiterHint : 0
; COMPUTE_PGM_RSRC2:SCRATCH_EN: 0
; COMPUTE_PGM_RSRC2:USER_SGPR: 15
; COMPUTE_PGM_RSRC2:TRAP_HANDLER: 0
; COMPUTE_PGM_RSRC2:TGID_X_EN: 1
; COMPUTE_PGM_RSRC2:TGID_Y_EN: 0
; COMPUTE_PGM_RSRC2:TGID_Z_EN: 0
; COMPUTE_PGM_RSRC2:TIDIG_COMP_CNT: 1
	.text
	.protected	_Z7Match10PKfS0_PfPi    ; -- Begin function _Z7Match10PKfS0_PfPi
	.globl	_Z7Match10PKfS0_PfPi
	.p2align	8
	.type	_Z7Match10PKfS0_PfPi,@function
_Z7Match10PKfS0_PfPi:                   ; @_Z7Match10PKfS0_PfPi
; %bb.0:
	v_and_b32_e32 v13, 0x3ff, v0
	v_bfe_u32 v14, v0, 10, 10
	s_delay_alu instid0(VALU_DEP_1) | instskip(NEXT) | instid1(VALU_DEP_1)
	v_or_b32_e32 v0, v13, v14
	v_cmp_lt_u32_e32 vcc_lo, 31, v0
	v_lshlrev_b32_e32 v0, 5, v14
	s_and_saveexec_b32 s2, vcc_lo
	s_delay_alu instid0(SALU_CYCLE_1)
	s_xor_b32 s2, exec_lo, s2
; %bb.1:
	v_lshlrev_b32_e32 v0, 5, v14
; %bb.2:
	s_or_saveexec_b32 s8, s2
	s_clause 0x1
	s_load_b128 s[4:7], s[0:1], 0x8
	s_load_b64 s[2:3], s[0:1], 0x18
	s_xor_b32 exec_lo, exec_lo, s8
	s_cbranch_execz .LBB9_6
; %bb.3:
	s_load_b64 s[0:1], s[0:1], 0x0
	v_add_nc_u32_e32 v1, v14, v13
	v_lshl_add_u32 v2, s15, 10, v0
	v_dual_mov_b32 v3, v0 :: v_dual_mov_b32 v4, v14
	s_mov_b32 s9, 0
	.p2align	6
.LBB9_4:                                ; =>This Inner Loop Header: Depth=1
	s_delay_alu instid0(VALU_DEP_1) | instskip(NEXT) | instid1(VALU_DEP_3)
	v_add_nc_u32_e32 v10, 8, v4
	v_add_nc_u32_e32 v5, v13, v2
	v_and_b32_e32 v9, 31, v1
	v_add_nc_u16 v1, v1, 8
	v_add_nc_u32_e32 v2, 0x100, v2
	s_delay_alu instid0(VALU_DEP_4) | instskip(NEXT) | instid1(VALU_DEP_4)
	v_ashrrev_i32_e32 v6, 31, v5
	v_add_lshl_u32 v9, v3, v9, 4
	v_add_nc_u32_e32 v3, 0x100, v3
	s_delay_alu instid0(VALU_DEP_3) | instskip(SKIP_1) | instid1(VALU_DEP_1)
	v_lshlrev_b64 v[5:6], 4, v[5:6]
	s_waitcnt lgkmcnt(0)
	v_add_co_u32 v5, vcc_lo, s0, v5
	s_delay_alu instid0(VALU_DEP_2)
	v_add_co_ci_u32_e32 v6, vcc_lo, s1, v6, vcc_lo
	v_cmp_lt_u32_e32 vcc_lo, 23, v4
	v_mov_b32_e32 v4, v10
	global_load_b128 v[5:8], v[5:6], off
	s_or_b32 s9, vcc_lo, s9
	s_waitcnt vmcnt(0)
	ds_store_b128 v9, v[5:8]
	s_and_not1_b32 exec_lo, exec_lo, s9
	s_cbranch_execnz .LBB9_4
; %bb.5:
	s_or_b32 exec_lo, exec_lo, s9
.LBB9_6:
	s_delay_alu instid0(SALU_CYCLE_1) | instskip(SKIP_3) | instid1(VALU_DEP_3)
	s_or_b32 exec_lo, exec_lo, s8
	v_dual_mov_b32 v23, -1 :: v_dual_add_nc_u32 v0, v0, v13
	v_dual_mov_b32 v25, 0 :: v_dual_and_b32 v16, 7, v13
	v_dual_mov_b32 v8, 0 :: v_dual_and_b32 v15, 15, v13
	v_lshrrev_b32_e32 v17, 3, v0
	s_delay_alu instid0(VALU_DEP_3)
	v_and_or_b32 v2, 0xfff8, v0, v16
	v_lshrrev_b32_e32 v3, 4, v0
	v_cmp_gt_u32_e64 s0, 0x80, v0
	v_dual_mov_b32 v26, 0 :: v_dual_lshlrev_b32 v19, 5, v15
	v_lshl_or_b32 v7, v17, 5, v16
	v_lshl_add_u32 v20, v2, 4, 0x4000
	v_dual_mov_b32 v27, -1 :: v_dual_lshlrev_b32 v18, 5, v3
	v_lshlrev_b32_e32 v21, 2, v3
	s_delay_alu instid0(VALU_DEP_4) | instskip(SKIP_4) | instid1(VALU_DEP_3)
	v_lshlrev_b64 v[0:1], 4, v[7:8]
	v_or_b32_e32 v22, 0x200, v19
	v_lshl_add_u32 v24, v3, 9, 0x4000
	s_mov_b32 s8, 0
	s_waitcnt lgkmcnt(0)
	v_add_co_u32 v0, vcc_lo, v0, s4
	v_add_co_ci_u32_e32 v1, vcc_lo, s5, v1, vcc_lo
	s_delay_alu instid0(VALU_DEP_2) | instskip(NEXT) | instid1(VALU_DEP_2)
	v_add_co_u32 v9, vcc_lo, 0x80, v0
	v_add_co_ci_u32_e32 v10, vcc_lo, 0, v1, vcc_lo
                                        ; implicit-def: $vgpr0_vgpr1_vgpr2_vgpr3
.LBB9_7:                                ; =>This Loop Header: Depth=1
                                        ;     Child Loop BB9_9 Depth 2
	v_add_nc_u32_e32 v4, s8, v17
	s_delay_alu instid0(VALU_DEP_2) | instskip(NEXT) | instid1(VALU_DEP_4)
	v_dual_mov_b32 v12, v10 :: v_dual_mov_b32 v29, 0
	v_dual_mov_b32 v11, v9 :: v_dual_mov_b32 v28, 0
	v_mov_b32_e32 v31, 0
	s_delay_alu instid0(VALU_DEP_4) | instskip(SKIP_2) | instid1(VALU_DEP_3)
	v_lshl_or_b32 v7, v4, 5, v16
	v_dual_mov_b32 v30, 0 :: v_dual_mov_b32 v33, 0
	v_dual_mov_b32 v32, 0 :: v_dual_mov_b32 v35, 0
	v_lshlrev_b64 v[4:5], 4, v[7:8]
	v_mov_b32_e32 v34, 0
	s_mov_b32 s1, 0
	s_delay_alu instid0(VALU_DEP_2) | instskip(NEXT) | instid1(VALU_DEP_3)
	v_add_co_u32 v4, vcc_lo, s4, v4
	v_add_co_ci_u32_e32 v5, vcc_lo, s5, v5, vcc_lo
	global_load_b128 v[4:7], v[4:5], off
	s_waitcnt vmcnt(0)
	ds_store_b128 v20, v[4:7]
	s_waitcnt lgkmcnt(0)
	s_barrier
	buffer_gl0_inv
	s_branch .LBB9_9
.LBB9_8:                                ;   in Loop: Header=BB9_9 Depth=2
	v_add_co_u32 v11, vcc_lo, 0x80, v11
	v_add_co_ci_u32_e32 v12, vcc_lo, 0, v12, vcc_lo
	s_and_b32 vcc_lo, exec_lo, s9
	s_add_i32 s1, s1, 8
	s_cbranch_vccnz .LBB9_15
.LBB9_9:                                ;   Parent Loop BB9_7 Depth=1
                                        ; =>  This Inner Loop Header: Depth=2
	s_cmp_lt_u32 s1, 24
	s_cselect_b32 s10, -1, 0
	s_cmp_gt_u32 s1, 23
	s_cselect_b32 s9, -1, 0
	s_delay_alu instid0(SALU_CYCLE_1)
	s_and_b32 vcc_lo, exec_lo, s9
	s_cbranch_vccnz .LBB9_11
; %bb.10:                               ;   in Loop: Header=BB9_9 Depth=2
	global_load_b128 v[0:3], v[11:12], off
.LBB9_11:                               ;   in Loop: Header=BB9_9 Depth=2
	s_and_saveexec_b32 s11, s0
	s_cbranch_execz .LBB9_13
; %bb.12:                               ;   in Loop: Header=BB9_9 Depth=2
	ds_load_b128 v[37:40], v24
	ds_load_b128 v[41:44], v24 offset:16
	v_add_nc_u32_e32 v36, s1, v15
	s_delay_alu instid0(VALU_DEP_1) | instskip(NEXT) | instid1(VALU_DEP_1)
	v_and_b32_e32 v4, 31, v36
	v_or_b32_e32 v5, v4, v19
	v_or_b32_e32 v4, v4, v22
	s_delay_alu instid0(VALU_DEP_2) | instskip(NEXT) | instid1(VALU_DEP_2)
	v_lshlrev_b32_e32 v53, 4, v5
	v_xor_b32_e32 v61, 16, v4
	ds_load_b128 v[45:48], v24 offset:32
	ds_load_b128 v[4:7], v24 offset:48
	;; [unrolled: 1-line block ×3, first 2 shown]
	ds_load_b128 v[53:56], v53
	ds_load_b128 v[57:60], v24 offset:384
	v_lshlrev_b32_e32 v69, 4, v61
	ds_load_b128 v[61:64], v24 offset:128
	ds_load_b128 v[65:68], v24 offset:144
	;; [unrolled: 1-line block ×3, first 2 shown]
	ds_load_b128 v[69:72], v69
	s_waitcnt lgkmcnt(5)
	v_fmac_f32_e32 v35, v37, v53
	v_add_nc_u32_e32 v77, 1, v36
	v_add_nc_u32_e32 v79, 2, v36
	v_dual_fmac_f32 v31, v49, v53 :: v_dual_add_nc_u32 v78, 17, v36
	s_waitcnt lgkmcnt(4)
	v_dual_fmac_f32 v29, v57, v53 :: v_dual_add_nc_u32 v80, 18, v36
	v_fmac_f32_e32 v35, v38, v54
	s_waitcnt lgkmcnt(3)
	v_dual_fmac_f32 v33, v61, v53 :: v_dual_and_b32 v82, 31, v78
	s_waitcnt lgkmcnt(0)
	v_fmac_f32_e32 v34, v37, v69
	v_and_or_b32 v81, v77, 31, v19
	v_dual_fmac_f32 v35, v39, v55 :: v_dual_fmac_f32 v32, v61, v69
	v_and_or_b32 v83, v79, 31, v19
	v_and_b32_e32 v84, 31, v80
	v_fmac_f32_e32 v30, v49, v69
	v_lshlrev_b32_e32 v81, 4, v81
	v_add_lshl_u32 v85, v82, v19, 4
	v_lshlrev_b32_e32 v89, 4, v83
	ds_load_b128 v[77:80], v24 offset:400
	v_add_lshl_u32 v90, v84, v19, 4
	v_fmac_f32_e32 v30, v50, v70
	ds_load_b128 v[81:84], v81
	ds_load_b128 v[85:88], v85 offset:8192
	v_fmac_f32_e32 v34, v38, v70
	v_dual_fmac_f32 v33, v62, v54 :: v_dual_fmac_f32 v28, v57, v69
	v_fmac_f32_e32 v31, v50, v54
	v_fmac_f32_e32 v32, v62, v70
	s_delay_alu instid0(VALU_DEP_4) | instskip(NEXT) | instid1(VALU_DEP_4)
	v_dual_fmac_f32 v34, v39, v71 :: v_dual_fmac_f32 v29, v58, v54
	v_dual_fmac_f32 v33, v63, v55 :: v_dual_fmac_f32 v28, v58, v70
	s_delay_alu instid0(VALU_DEP_2)
	v_dual_fmac_f32 v31, v51, v55 :: v_dual_fmac_f32 v34, v40, v72
	v_dual_fmac_f32 v35, v40, v56 :: v_dual_fmac_f32 v30, v51, v71
	v_fmac_f32_e32 v32, v63, v71
	v_fmac_f32_e32 v29, v59, v55
	v_dual_fmac_f32 v33, v64, v56 :: v_dual_fmac_f32 v28, v59, v71
	v_fmac_f32_e32 v31, v52, v56
	s_delay_alu instid0(VALU_DEP_4) | instskip(SKIP_3) | instid1(VALU_DEP_3)
	v_fmac_f32_e32 v32, v64, v72
	s_waitcnt lgkmcnt(0)
	v_fmac_f32_e32 v34, v41, v85
	v_dual_fmac_f32 v35, v41, v81 :: v_dual_fmac_f32 v30, v52, v72
	v_dual_fmac_f32 v29, v60, v56 :: v_dual_fmac_f32 v32, v65, v85
	;; [unrolled: 1-line block ×3, first 2 shown]
	s_delay_alu instid0(VALU_DEP_4) | instskip(NEXT) | instid1(VALU_DEP_4)
	v_fmac_f32_e32 v34, v42, v86
	v_fmac_f32_e32 v35, v42, v82
	ds_load_b128 v[37:40], v89
	v_dual_fmac_f32 v32, v66, v86 :: v_dual_fmac_f32 v31, v73, v81
	v_dual_fmac_f32 v33, v66, v82 :: v_dual_fmac_f32 v34, v43, v87
	v_fmac_f32_e32 v35, v43, v83
	s_delay_alu instid0(VALU_DEP_3) | instskip(NEXT) | instid1(VALU_DEP_3)
	v_fmac_f32_e32 v32, v67, v87
	v_dual_fmac_f32 v30, v73, v85 :: v_dual_fmac_f32 v33, v67, v83
	s_delay_alu instid0(VALU_DEP_4) | instskip(NEXT) | instid1(VALU_DEP_4)
	v_fmac_f32_e32 v34, v44, v88
	v_fmac_f32_e32 v35, v44, v84
	ds_load_b128 v[41:44], v90 offset:8192
	v_dual_fmac_f32 v31, v74, v82 :: v_dual_fmac_f32 v32, v68, v88
	ds_load_b128 v[49:52], v24 offset:160
	v_dual_fmac_f32 v33, v68, v84 :: v_dual_fmac_f32 v30, v74, v86
	v_dual_fmac_f32 v31, v75, v83 :: v_dual_fmac_f32 v28, v77, v85
	v_fmac_f32_e32 v29, v77, v81
	s_waitcnt lgkmcnt(2)
	s_delay_alu instid0(VALU_DEP_3)
	v_dual_fmac_f32 v35, v45, v37 :: v_dual_fmac_f32 v30, v75, v87
	ds_load_b128 v[53:56], v24 offset:288
	ds_load_b128 v[69:72], v24 offset:304
	v_fmac_f32_e32 v29, v78, v82
	v_fmac_f32_e32 v28, v78, v86
	;; [unrolled: 1-line block ×5, first 2 shown]
	ds_load_b128 v[61:64], v24 offset:416
	v_fmac_f32_e32 v28, v79, v87
	s_waitcnt lgkmcnt(4)
	v_dual_fmac_f32 v29, v79, v83 :: v_dual_fmac_f32 v34, v45, v41
	v_add_nc_u32_e32 v57, 3, v36
	s_delay_alu instid0(VALU_DEP_3) | instskip(NEXT) | instid1(VALU_DEP_3)
	v_dual_fmac_f32 v35, v47, v39 :: v_dual_fmac_f32 v28, v80, v88
	v_fmac_f32_e32 v34, v46, v42
	v_add_nc_u32_e32 v46, 19, v36
	s_delay_alu instid0(VALU_DEP_4)
	v_and_or_b32 v45, v57, 31, v19
	ds_load_b128 v[57:60], v24 offset:176
	s_waitcnt lgkmcnt(4)
	v_dual_fmac_f32 v29, v80, v84 :: v_dual_fmac_f32 v32, v49, v41
	v_fmac_f32_e32 v35, v48, v40
	v_dual_fmac_f32 v33, v49, v37 :: v_dual_fmac_f32 v34, v47, v43
	s_waitcnt lgkmcnt(3)
	v_fmac_f32_e32 v30, v53, v41
	v_dual_fmac_f32 v32, v50, v42 :: v_dual_lshlrev_b32 v45, 4, v45
	s_delay_alu instid0(VALU_DEP_3) | instskip(NEXT) | instid1(VALU_DEP_3)
	v_dual_fmac_f32 v33, v50, v38 :: v_dual_fmac_f32 v34, v48, v44
	v_fmac_f32_e32 v30, v54, v42
	s_delay_alu instid0(VALU_DEP_3)
	v_fmac_f32_e32 v32, v51, v43
	ds_load_b128 v[65:68], v45
	v_and_b32_e32 v45, 31, v46
	v_fmac_f32_e32 v31, v53, v37
	v_dual_fmac_f32 v33, v51, v39 :: v_dual_fmac_f32 v32, v52, v44
	v_fmac_f32_e32 v30, v55, v43
	s_delay_alu instid0(VALU_DEP_4) | instskip(NEXT) | instid1(VALU_DEP_3)
	v_add_lshl_u32 v45, v45, v19, 4
	v_fmac_f32_e32 v33, v52, v40
	s_delay_alu instid0(VALU_DEP_3)
	v_fmac_f32_e32 v30, v56, v44
	ds_load_b128 v[73:76], v45 offset:8192
	ds_load_b128 v[45:48], v24 offset:432
	s_waitcnt lgkmcnt(4)
	v_dual_fmac_f32 v31, v54, v38 :: v_dual_fmac_f32 v28, v61, v41
	v_fmac_f32_e32 v29, v61, v37
	v_add_nc_u32_e32 v37, 4, v36
	s_delay_alu instid0(VALU_DEP_3) | instskip(SKIP_2) | instid1(VALU_DEP_2)
	v_dual_fmac_f32 v31, v55, v39 :: v_dual_fmac_f32 v28, v62, v42
	s_waitcnt lgkmcnt(2)
	v_fmac_f32_e32 v35, v4, v65
	v_dual_fmac_f32 v29, v62, v38 :: v_dual_fmac_f32 v28, v63, v43
	s_delay_alu instid0(VALU_DEP_1)
	v_dual_fmac_f32 v35, v5, v66 :: v_dual_fmac_f32 v28, v64, v44
	s_waitcnt lgkmcnt(1)
	v_fmac_f32_e32 v34, v4, v73
	v_fmac_f32_e32 v32, v57, v73
	v_and_or_b32 v4, v37, 31, v19
	v_fmac_f32_e32 v31, v56, v40
	s_delay_alu instid0(VALU_DEP_4) | instskip(SKIP_1) | instid1(VALU_DEP_4)
	v_dual_fmac_f32 v29, v63, v39 :: v_dual_fmac_f32 v34, v5, v74
	v_add_nc_u32_e32 v5, 20, v36
	v_dual_fmac_f32 v35, v6, v67 :: v_dual_lshlrev_b32 v4, 4, v4
	s_delay_alu instid0(VALU_DEP_3)
	v_dual_fmac_f32 v29, v64, v40 :: v_dual_fmac_f32 v34, v6, v75
	ds_load_b128 v[37:40], v24 offset:64
	ds_load_b128 v[41:44], v4
	v_dual_fmac_f32 v35, v7, v68 :: v_dual_and_b32 v4, 31, v5
	v_dual_fmac_f32 v32, v58, v74 :: v_dual_fmac_f32 v33, v57, v65
	v_fmac_f32_e32 v34, v7, v76
	s_delay_alu instid0(VALU_DEP_3) | instskip(SKIP_1) | instid1(VALU_DEP_4)
	v_add_lshl_u32 v4, v4, v19, 4
	v_fmac_f32_e32 v30, v69, v73
	v_dual_fmac_f32 v32, v59, v75 :: v_dual_fmac_f32 v33, v58, v66
	v_fmac_f32_e32 v31, v69, v65
	ds_load_b128 v[4:7], v4 offset:8192
	ds_load_b128 v[49:52], v24 offset:80
	v_dual_fmac_f32 v30, v70, v74 :: v_dual_fmac_f32 v33, v59, v67
	v_dual_fmac_f32 v32, v60, v76 :: v_dual_fmac_f32 v31, v70, v66
	s_waitcnt lgkmcnt(4)
	v_fmac_f32_e32 v28, v45, v73
	s_delay_alu instid0(VALU_DEP_3) | instskip(SKIP_1) | instid1(VALU_DEP_3)
	v_dual_fmac_f32 v30, v71, v75 :: v_dual_fmac_f32 v33, v60, v68
	v_fmac_f32_e32 v29, v45, v65
	v_dual_fmac_f32 v31, v71, v67 :: v_dual_fmac_f32 v28, v46, v74
	ds_load_b128 v[53:56], v24 offset:192
	v_dual_fmac_f32 v30, v72, v76 :: v_dual_fmac_f32 v29, v46, v66
	ds_load_b128 v[57:60], v24 offset:320
	s_waitcnt lgkmcnt(4)
	v_dual_fmac_f32 v35, v37, v41 :: v_dual_fmac_f32 v28, v47, v75
	ds_load_b128 v[61:64], v24 offset:448
	s_waitcnt lgkmcnt(4)
	v_fmac_f32_e32 v34, v37, v4
	v_fmac_f32_e32 v31, v72, v68
	v_dual_fmac_f32 v35, v38, v42 :: v_dual_fmac_f32 v28, v48, v76
	s_delay_alu instid0(VALU_DEP_3)
	v_dual_fmac_f32 v29, v47, v67 :: v_dual_fmac_f32 v34, v38, v5
	v_add_nc_u32_e32 v38, 21, v36
	v_add_nc_u32_e32 v45, 5, v36
	ds_load_b128 v[69:72], v24 offset:336
	v_dual_fmac_f32 v29, v48, v68 :: v_dual_fmac_f32 v34, v39, v6
	v_and_b32_e32 v38, 31, v38
	v_and_or_b32 v37, v45, 31, v19
	ds_load_b128 v[45:48], v24 offset:208
	s_waitcnt lgkmcnt(4)
	v_dual_fmac_f32 v35, v39, v43 :: v_dual_fmac_f32 v32, v53, v4
	s_waitcnt lgkmcnt(3)
	v_dual_fmac_f32 v30, v57, v4 :: v_dual_lshlrev_b32 v37, 4, v37
	v_fmac_f32_e32 v34, v40, v7
	s_delay_alu instid0(VALU_DEP_3)
	v_dual_fmac_f32 v35, v40, v44 :: v_dual_fmac_f32 v32, v54, v5
	v_fmac_f32_e32 v33, v53, v41
	ds_load_b128 v[65:68], v37
	v_add_lshl_u32 v37, v38, v19, 4
	v_fmac_f32_e32 v30, v58, v5
	v_fmac_f32_e32 v32, v55, v6
	;; [unrolled: 1-line block ×4, first 2 shown]
	ds_load_b128 v[73:76], v37 offset:8192
	ds_load_b128 v[37:40], v24 offset:464
	v_fmac_f32_e32 v32, v56, v7
	v_fmac_f32_e32 v33, v55, v43
	s_waitcnt lgkmcnt(5)
	v_dual_fmac_f32 v31, v58, v42 :: v_dual_fmac_f32 v28, v61, v4
	v_dual_fmac_f32 v30, v59, v6 :: v_dual_fmac_f32 v29, v61, v41
	s_delay_alu instid0(VALU_DEP_3) | instskip(NEXT) | instid1(VALU_DEP_3)
	v_fmac_f32_e32 v33, v56, v44
	v_dual_fmac_f32 v31, v59, v43 :: v_dual_fmac_f32 v28, v62, v5
	s_delay_alu instid0(VALU_DEP_3) | instskip(SKIP_1) | instid1(VALU_DEP_3)
	v_fmac_f32_e32 v30, v60, v7
	v_add_nc_u32_e32 v4, 6, v36
	v_dual_fmac_f32 v31, v60, v44 :: v_dual_fmac_f32 v28, v63, v6
	v_fmac_f32_e32 v29, v62, v42
	s_waitcnt lgkmcnt(2)
	v_fmac_f32_e32 v35, v49, v65
	v_and_or_b32 v4, v4, 31, v19
	s_waitcnt lgkmcnt(1)
	v_fmac_f32_e32 v34, v49, v73
	v_fmac_f32_e32 v28, v64, v7
	v_dual_fmac_f32 v29, v63, v43 :: v_dual_fmac_f32 v32, v45, v73
	v_fmac_f32_e32 v30, v69, v73
	s_delay_alu instid0(VALU_DEP_4) | instskip(SKIP_1) | instid1(VALU_DEP_4)
	v_fmac_f32_e32 v34, v50, v74
	v_fmac_f32_e32 v35, v50, v66
	v_dual_fmac_f32 v29, v64, v44 :: v_dual_fmac_f32 v32, v46, v74
	s_delay_alu instid0(VALU_DEP_4) | instskip(NEXT) | instid1(VALU_DEP_4)
	v_fmac_f32_e32 v30, v70, v74
	v_dual_fmac_f32 v34, v51, v75 :: v_dual_fmac_f32 v33, v45, v65
	s_delay_alu instid0(VALU_DEP_4) | instskip(SKIP_2) | instid1(VALU_DEP_4)
	v_fmac_f32_e32 v35, v51, v67
	v_add_nc_u32_e32 v45, 22, v36
	v_dual_fmac_f32 v32, v47, v75 :: v_dual_lshlrev_b32 v41, 4, v4
	v_dual_fmac_f32 v34, v52, v76 :: v_dual_fmac_f32 v33, v46, v66
	s_delay_alu instid0(VALU_DEP_4) | instskip(NEXT) | instid1(VALU_DEP_4)
	v_fmac_f32_e32 v35, v52, v68
	v_dual_fmac_f32 v30, v71, v75 :: v_dual_and_b32 v45, 31, v45
	ds_load_b128 v[4:7], v24 offset:96
	ds_load_b128 v[41:44], v41
	s_waitcnt lgkmcnt(2)
	v_dual_fmac_f32 v33, v47, v67 :: v_dual_fmac_f32 v28, v37, v73
	v_add_lshl_u32 v45, v45, v19, 4
	v_dual_fmac_f32 v31, v69, v65 :: v_dual_fmac_f32 v32, v48, v76
	s_delay_alu instid0(VALU_DEP_3)
	v_dual_fmac_f32 v33, v48, v68 :: v_dual_fmac_f32 v28, v38, v74
	ds_load_b128 v[45:48], v45 offset:8192
	ds_load_b128 v[49:52], v24 offset:112
	;; [unrolled: 1-line block ×3, first 2 shown]
	v_dual_fmac_f32 v29, v37, v65 :: v_dual_fmac_f32 v28, v39, v75
	v_dual_fmac_f32 v31, v70, v66 :: v_dual_fmac_f32 v30, v72, v76
	ds_load_b128 v[57:60], v24 offset:352
	v_dual_fmac_f32 v29, v38, v66 :: v_dual_fmac_f32 v28, v40, v76
	v_fmac_f32_e32 v31, v71, v67
	ds_load_b128 v[61:64], v24 offset:368
	s_waitcnt lgkmcnt(4)
	v_dual_fmac_f32 v29, v39, v67 :: v_dual_fmac_f32 v34, v4, v45
	s_waitcnt lgkmcnt(2)
	v_dual_fmac_f32 v32, v53, v45 :: v_dual_add_nc_u32 v37, 7, v36
	v_dual_fmac_f32 v35, v4, v41 :: v_dual_add_nc_u32 v36, 23, v36
	s_delay_alu instid0(VALU_DEP_3) | instskip(NEXT) | instid1(VALU_DEP_3)
	v_dual_fmac_f32 v29, v40, v68 :: v_dual_fmac_f32 v34, v5, v46
	v_fmac_f32_e32 v32, v54, v46
	s_delay_alu instid0(VALU_DEP_4) | instskip(NEXT) | instid1(VALU_DEP_4)
	v_and_or_b32 v4, v37, 31, v19
	v_dual_fmac_f32 v35, v5, v42 :: v_dual_and_b32 v40, 31, v36
	ds_load_b128 v[36:39], v24 offset:240
	s_waitcnt lgkmcnt(2)
	v_dual_fmac_f32 v31, v72, v68 :: v_dual_fmac_f32 v30, v57, v45
	v_dual_fmac_f32 v35, v6, v43 :: v_dual_lshlrev_b32 v4, 4, v4
	v_add_lshl_u32 v40, v40, v19, 4
	ds_load_b128 v[65:68], v24 offset:480
	ds_load_b128 v[69:72], v4
	ds_load_b128 v[73:76], v40 offset:8192
	v_dual_fmac_f32 v33, v53, v41 :: v_dual_fmac_f32 v34, v6, v47
	v_dual_fmac_f32 v31, v57, v41 :: v_dual_fmac_f32 v32, v55, v47
	;; [unrolled: 1-line block ×3, first 2 shown]
	s_delay_alu instid0(VALU_DEP_3) | instskip(NEXT) | instid1(VALU_DEP_3)
	v_fmac_f32_e32 v33, v54, v42
	v_dual_fmac_f32 v31, v58, v42 :: v_dual_fmac_f32 v34, v7, v48
	s_delay_alu instid0(VALU_DEP_4) | instskip(NEXT) | instid1(VALU_DEP_4)
	v_fmac_f32_e32 v32, v56, v48
	v_fmac_f32_e32 v30, v59, v47
	s_delay_alu instid0(VALU_DEP_4) | instskip(NEXT) | instid1(VALU_DEP_4)
	v_fmac_f32_e32 v33, v55, v43
	v_fmac_f32_e32 v31, v59, v43
	ds_load_b128 v[4:7], v24 offset:496
	v_fmac_f32_e32 v30, v60, v48
	s_waitcnt lgkmcnt(3)
	v_dual_fmac_f32 v33, v56, v44 :: v_dual_fmac_f32 v28, v65, v45
	s_waitcnt lgkmcnt(1)
	v_dual_fmac_f32 v31, v60, v44 :: v_dual_fmac_f32 v34, v49, v73
	v_fmac_f32_e32 v29, v65, v41
	s_delay_alu instid0(VALU_DEP_3) | instskip(NEXT) | instid1(VALU_DEP_3)
	v_dual_fmac_f32 v35, v49, v69 :: v_dual_fmac_f32 v28, v66, v46
	v_dual_fmac_f32 v33, v36, v69 :: v_dual_fmac_f32 v34, v50, v74
	s_delay_alu instid0(VALU_DEP_3) | instskip(NEXT) | instid1(VALU_DEP_3)
	v_dual_fmac_f32 v29, v66, v42 :: v_dual_fmac_f32 v32, v36, v73
	v_dual_fmac_f32 v28, v67, v47 :: v_dual_fmac_f32 v35, v50, v70
	s_delay_alu instid0(VALU_DEP_3) | instskip(NEXT) | instid1(VALU_DEP_3)
	v_fmac_f32_e32 v34, v51, v75
	v_fmac_f32_e32 v29, v67, v43
	s_delay_alu instid0(VALU_DEP_3) | instskip(NEXT) | instid1(VALU_DEP_4)
	v_dual_fmac_f32 v33, v37, v70 :: v_dual_fmac_f32 v28, v68, v48
	v_dual_fmac_f32 v35, v51, v71 :: v_dual_fmac_f32 v30, v61, v73
	s_delay_alu instid0(VALU_DEP_3) | instskip(NEXT) | instid1(VALU_DEP_3)
	v_dual_fmac_f32 v29, v68, v44 :: v_dual_fmac_f32 v32, v37, v74
	v_dual_fmac_f32 v34, v52, v76 :: v_dual_fmac_f32 v33, v38, v71
	s_waitcnt lgkmcnt(0)
	v_fmac_f32_e32 v28, v4, v73
	v_dual_fmac_f32 v35, v52, v72 :: v_dual_fmac_f32 v30, v62, v74
	v_dual_fmac_f32 v31, v61, v69 :: v_dual_fmac_f32 v32, v38, v75
	v_fmac_f32_e32 v29, v4, v69
	s_delay_alu instid0(VALU_DEP_4) | instskip(NEXT) | instid1(VALU_DEP_3)
	v_dual_fmac_f32 v33, v39, v72 :: v_dual_fmac_f32 v28, v5, v74
	v_dual_fmac_f32 v31, v62, v70 :: v_dual_fmac_f32 v32, v39, v76
	s_delay_alu instid0(VALU_DEP_3) | instskip(NEXT) | instid1(VALU_DEP_3)
	v_dual_fmac_f32 v30, v63, v75 :: v_dual_fmac_f32 v29, v5, v70
	v_fmac_f32_e32 v28, v6, v75
	s_delay_alu instid0(VALU_DEP_2) | instskip(NEXT) | instid1(VALU_DEP_2)
	v_dual_fmac_f32 v31, v63, v71 :: v_dual_fmac_f32 v30, v64, v76
	v_dual_fmac_f32 v29, v6, v71 :: v_dual_fmac_f32 v28, v7, v76
	s_delay_alu instid0(VALU_DEP_2) | instskip(NEXT) | instid1(VALU_DEP_2)
	v_fmac_f32_e32 v31, v64, v72
	v_fmac_f32_e32 v29, v7, v72
.LBB9_13:                               ;   in Loop: Header=BB9_9 Depth=2
	s_or_b32 exec_lo, exec_lo, s11
	s_delay_alu instid0(SALU_CYCLE_1)
	s_and_not1_b32 vcc_lo, exec_lo, s10
	s_waitcnt vmcnt(0)
	s_barrier
	buffer_gl0_inv
	s_cbranch_vccnz .LBB9_8
; %bb.14:                               ;   in Loop: Header=BB9_9 Depth=2
	ds_store_b128 v20, v[0:3]
	s_waitcnt lgkmcnt(0)
	s_barrier
	buffer_gl0_inv
	s_branch .LBB9_8
.LBB9_15:                               ;   in Loop: Header=BB9_7 Depth=1
	v_add_nc_u32_e32 v4, s8, v21
	v_cmp_gt_f32_e32 vcc_lo, v35, v25
	v_cmp_gt_f32_e64 s1, v34, v26
	s_barrier
	s_delay_alu instid0(VALU_DEP_3) | instskip(SKIP_1) | instid1(VALU_DEP_3)
	v_or_b32_e32 v12, 1, v4
	v_dual_cndmask_b32 v5, v23, v4 :: v_dual_cndmask_b32 v6, v25, v35
	v_cndmask_b32_e64 v11, v26, v34, s1
	buffer_gl0_inv
	v_cmp_gt_f32_e32 vcc_lo, v33, v6
	v_cndmask_b32_e32 v5, v5, v12, vcc_lo
	v_cndmask_b32_e64 v7, v27, v4, s1
	v_cmp_gt_f32_e64 s1, v32, v11
	s_delay_alu instid0(VALU_DEP_1) | instskip(SKIP_4) | instid1(VALU_DEP_3)
	v_cndmask_b32_e64 v7, v7, v12, s1
	v_or_b32_e32 v12, 2, v4
	v_cndmask_b32_e32 v6, v6, v33, vcc_lo
	v_cndmask_b32_e64 v11, v11, v32, s1
	v_or_b32_e32 v4, 3, v4
	v_cmp_gt_f32_e32 vcc_lo, v31, v6
	s_delay_alu instid0(VALU_DEP_3) | instskip(SKIP_1) | instid1(VALU_DEP_2)
	v_cmp_gt_f32_e64 s1, v30, v11
	v_dual_cndmask_b32 v5, v5, v12 :: v_dual_cndmask_b32 v6, v6, v31
	v_cndmask_b32_e64 v11, v11, v30, s1
	v_cndmask_b32_e64 v7, v7, v12, s1
	s_delay_alu instid0(VALU_DEP_3) | instskip(NEXT) | instid1(VALU_DEP_3)
	v_cmp_gt_f32_e32 vcc_lo, v29, v6
	v_cmp_gt_f32_e64 s1, v28, v11
	v_cndmask_b32_e32 v23, v5, v4, vcc_lo
	v_cndmask_b32_e32 v25, v6, v29, vcc_lo
	v_add_co_u32 v9, vcc_lo, 0x4000, v9
	s_delay_alu instid0(VALU_DEP_4)
	v_cndmask_b32_e64 v27, v7, v4, s1
	v_cndmask_b32_e64 v26, v11, v28, s1
	v_add_co_ci_u32_e32 v10, vcc_lo, 0, v10, vcc_lo
	s_add_i32 s1, s8, 32
	s_cmpk_gt_u32 s8, 0x3fdf
	s_cbranch_scc1 .LBB9_17
; %bb.16:                               ;   in Loop: Header=BB9_7 Depth=1
	s_mov_b32 s8, s1
	s_branch .LBB9_7
.LBB9_17:
	s_and_saveexec_b32 s1, s0
	s_cbranch_execz .LBB9_19
; %bb.18:
	v_or_b32_e32 v0, v18, v15
	s_delay_alu instid0(VALU_DEP_1) | instskip(NEXT) | instid1(VALU_DEP_1)
	v_lshlrev_b32_e32 v0, 2, v0
	v_add_nc_u32_e32 v1, 0x400, v0
	ds_store_2addr_b32 v0, v25, v26 offset1:16
	ds_store_2addr_b32 v1, v23, v27 offset1:16
.LBB9_19:
	s_or_b32 exec_lo, exec_lo, s1
	s_waitcnt lgkmcnt(0)
	s_barrier
	buffer_gl0_inv
	s_mov_b32 s0, exec_lo
	v_cmpx_eq_u32_e32 0, v14
	s_cbranch_execz .LBB9_21
; %bb.20:
	v_add_nc_u32_e32 v7, 32, v13
	v_lshlrev_b32_e32 v6, 2, v13
	v_add_nc_u32_e32 v8, 64, v13
	ds_load_2addr_b32 v[0:1], v6 offset1:32
	ds_load_2addr_b32 v[2:3], v6 offset0:64 offset1:96
	ds_load_2addr_b32 v[4:5], v6 offset0:128 offset1:160
	s_waitcnt lgkmcnt(2)
	v_cmp_gt_f32_e32 vcc_lo, v1, v0
	v_dual_cndmask_b32 v0, v0, v1 :: v_dual_cndmask_b32 v7, v13, v7
	s_waitcnt lgkmcnt(1)
	s_delay_alu instid0(VALU_DEP_1)
	v_cmp_gt_f32_e32 vcc_lo, v2, v0
	v_dual_cndmask_b32 v2, v0, v2 :: v_dual_add_nc_u32 v9, 0x60, v13
	ds_load_2addr_b32 v[0:1], v6 offset0:192 offset1:224
	v_cndmask_b32_e32 v6, v7, v8, vcc_lo
	v_cmp_gt_f32_e32 vcc_lo, v3, v2
	v_dual_cndmask_b32 v2, v2, v3 :: v_dual_add_nc_u32 v3, 0x80, v13
	s_delay_alu instid0(VALU_DEP_3) | instskip(SKIP_1) | instid1(VALU_DEP_2)
	v_cndmask_b32_e32 v6, v6, v9, vcc_lo
	s_waitcnt lgkmcnt(1)
	v_cmp_gt_f32_e32 vcc_lo, v4, v2
	v_cndmask_b32_e32 v2, v2, v4, vcc_lo
	s_delay_alu instid0(VALU_DEP_3) | instskip(NEXT) | instid1(VALU_DEP_2)
	v_dual_cndmask_b32 v3, v6, v3 :: v_dual_add_nc_u32 v4, 0xa0, v13
	v_cmp_gt_f32_e32 vcc_lo, v5, v2
	v_cndmask_b32_e32 v2, v2, v5, vcc_lo
	v_add_nc_u32_e32 v5, 0xc0, v13
	s_delay_alu instid0(VALU_DEP_4) | instskip(SKIP_1) | instid1(VALU_DEP_3)
	v_cndmask_b32_e32 v3, v3, v4, vcc_lo
	s_waitcnt lgkmcnt(0)
	v_cmp_gt_f32_e32 vcc_lo, v0, v2
	s_delay_alu instid0(VALU_DEP_2) | instskip(SKIP_1) | instid1(VALU_DEP_2)
	v_dual_cndmask_b32 v0, v2, v0 :: v_dual_cndmask_b32 v3, v3, v5
	v_add_nc_u32_e32 v2, 0xe0, v13
	v_cmp_gt_f32_e32 vcc_lo, v1, v0
	s_delay_alu instid0(VALU_DEP_2) | instskip(SKIP_1) | instid1(VALU_DEP_2)
	v_dual_cndmask_b32 v4, v0, v1 :: v_dual_cndmask_b32 v1, v3, v2
	v_lshl_add_u32 v0, s15, 5, v13
	v_lshlrev_b32_e32 v2, 2, v1
	s_delay_alu instid0(VALU_DEP_2) | instskip(SKIP_2) | instid1(VALU_DEP_1)
	v_ashrrev_i32_e32 v1, 31, v0
	ds_load_b32 v5, v2 offset:1024
	v_lshlrev_b64 v[0:1], 2, v[0:1]
	v_add_co_u32 v2, vcc_lo, s6, v0
	s_delay_alu instid0(VALU_DEP_2)
	v_add_co_ci_u32_e32 v3, vcc_lo, s7, v1, vcc_lo
	v_add_co_u32 v0, vcc_lo, s2, v0
	v_add_co_ci_u32_e32 v1, vcc_lo, s3, v1, vcc_lo
	global_store_b32 v[2:3], v4, off
	s_waitcnt lgkmcnt(0)
	global_store_b32 v[0:1], v5, off
.LBB9_21:
	s_nop 0
	s_sendmsg sendmsg(MSG_DEALLOC_VGPRS)
	s_endpgm
	.section	.rodata,"a",@progbits
	.p2align	6, 0x0
	.amdhsa_kernel _Z7Match10PKfS0_PfPi
		.amdhsa_group_segment_fixed_size 20480
		.amdhsa_private_segment_fixed_size 0
		.amdhsa_kernarg_size 32
		.amdhsa_user_sgpr_count 15
		.amdhsa_user_sgpr_dispatch_ptr 0
		.amdhsa_user_sgpr_queue_ptr 0
		.amdhsa_user_sgpr_kernarg_segment_ptr 1
		.amdhsa_user_sgpr_dispatch_id 0
		.amdhsa_user_sgpr_private_segment_size 0
		.amdhsa_wavefront_size32 1
		.amdhsa_uses_dynamic_stack 0
		.amdhsa_enable_private_segment 0
		.amdhsa_system_sgpr_workgroup_id_x 1
		.amdhsa_system_sgpr_workgroup_id_y 0
		.amdhsa_system_sgpr_workgroup_id_z 0
		.amdhsa_system_sgpr_workgroup_info 0
		.amdhsa_system_vgpr_workitem_id 1
		.amdhsa_next_free_vgpr 91
		.amdhsa_next_free_sgpr 16
		.amdhsa_reserve_vcc 1
		.amdhsa_float_round_mode_32 0
		.amdhsa_float_round_mode_16_64 0
		.amdhsa_float_denorm_mode_32 3
		.amdhsa_float_denorm_mode_16_64 3
		.amdhsa_dx10_clamp 1
		.amdhsa_ieee_mode 1
		.amdhsa_fp16_overflow 0
		.amdhsa_workgroup_processor_mode 1
		.amdhsa_memory_ordered 1
		.amdhsa_forward_progress 0
		.amdhsa_shared_vgpr_count 0
		.amdhsa_exception_fp_ieee_invalid_op 0
		.amdhsa_exception_fp_denorm_src 0
		.amdhsa_exception_fp_ieee_div_zero 0
		.amdhsa_exception_fp_ieee_overflow 0
		.amdhsa_exception_fp_ieee_underflow 0
		.amdhsa_exception_fp_ieee_inexact 0
		.amdhsa_exception_int_div_zero 0
	.end_amdhsa_kernel
	.text
.Lfunc_end9:
	.size	_Z7Match10PKfS0_PfPi, .Lfunc_end9-_Z7Match10PKfS0_PfPi
                                        ; -- End function
	.section	.AMDGPU.csdata,"",@progbits
; Kernel info:
; codeLenInByte = 3236
; NumSgprs: 18
; NumVgprs: 91
; ScratchSize: 0
; MemoryBound: 0
; FloatMode: 240
; IeeeMode: 1
; LDSByteSize: 20480 bytes/workgroup (compile time only)
; SGPRBlocks: 2
; VGPRBlocks: 11
; NumSGPRsForWavesPerEU: 18
; NumVGPRsForWavesPerEU: 91
; Occupancy: 16
; WaveLimiterHint : 0
; COMPUTE_PGM_RSRC2:SCRATCH_EN: 0
; COMPUTE_PGM_RSRC2:USER_SGPR: 15
; COMPUTE_PGM_RSRC2:TRAP_HANDLER: 0
; COMPUTE_PGM_RSRC2:TGID_X_EN: 1
; COMPUTE_PGM_RSRC2:TGID_Y_EN: 0
; COMPUTE_PGM_RSRC2:TGID_Z_EN: 0
; COMPUTE_PGM_RSRC2:TIDIG_COMP_CNT: 1
	.text
	.p2alignl 7, 3214868480
	.fill 96, 4, 3214868480
	.type	__hip_cuid_a89e937747c1100b,@object ; @__hip_cuid_a89e937747c1100b
	.section	.bss,"aw",@nobits
	.globl	__hip_cuid_a89e937747c1100b
__hip_cuid_a89e937747c1100b:
	.byte	0                               ; 0x0
	.size	__hip_cuid_a89e937747c1100b, 1

	.ident	"AMD clang version 19.0.0git (https://github.com/RadeonOpenCompute/llvm-project roc-6.4.0 25133 c7fe45cf4b819c5991fe208aaa96edf142730f1d)"
	.section	".note.GNU-stack","",@progbits
	.addrsig
	.addrsig_sym __hip_cuid_a89e937747c1100b
	.amdgpu_metadata
---
amdhsa.kernels:
  - .args:
      - .actual_access:  read_only
        .address_space:  global
        .offset:         0
        .size:           8
        .value_kind:     global_buffer
      - .actual_access:  read_only
        .address_space:  global
        .offset:         8
        .size:           8
        .value_kind:     global_buffer
      - .actual_access:  write_only
        .address_space:  global
        .offset:         16
        .size:           8
        .value_kind:     global_buffer
      - .actual_access:  write_only
        .address_space:  global
        .offset:         24
        .size:           8
        .value_kind:     global_buffer
    .group_segment_fixed_size: 0
    .kernarg_segment_align: 8
    .kernarg_segment_size: 32
    .language:       OpenCL C
    .language_version:
      - 2
      - 0
    .max_flat_workgroup_size: 1024
    .name:           _Z6Match1PKfS0_PfPi
    .private_segment_fixed_size: 0
    .sgpr_count:     22
    .sgpr_spill_count: 0
    .symbol:         _Z6Match1PKfS0_PfPi.kd
    .uniform_work_group_size: 1
    .uses_dynamic_stack: false
    .vgpr_count:     14
    .vgpr_spill_count: 0
    .wavefront_size: 32
    .workgroup_processor_mode: 1
  - .args:
      - .actual_access:  read_only
        .address_space:  global
        .offset:         0
        .size:           8
        .value_kind:     global_buffer
      - .actual_access:  read_only
        .address_space:  global
        .offset:         8
        .size:           8
        .value_kind:     global_buffer
      - .actual_access:  write_only
        .address_space:  global
        .offset:         16
        .size:           8
        .value_kind:     global_buffer
      - .actual_access:  write_only
        .address_space:  global
        .offset:         24
        .size:           8
        .value_kind:     global_buffer
    .group_segment_fixed_size: 17408
    .kernarg_segment_align: 8
    .kernarg_segment_size: 32
    .language:       OpenCL C
    .language_version:
      - 2
      - 0
    .max_flat_workgroup_size: 1024
    .name:           _Z6Match2PKfS0_PfPi
    .private_segment_fixed_size: 0
    .sgpr_count:     22
    .sgpr_spill_count: 0
    .symbol:         _Z6Match2PKfS0_PfPi.kd
    .uniform_work_group_size: 1
    .uses_dynamic_stack: false
    .vgpr_count:     29
    .vgpr_spill_count: 0
    .wavefront_size: 32
    .workgroup_processor_mode: 1
  - .args:
      - .actual_access:  read_only
        .address_space:  global
        .offset:         0
        .size:           8
        .value_kind:     global_buffer
      - .actual_access:  read_only
        .address_space:  global
        .offset:         8
        .size:           8
        .value_kind:     global_buffer
      - .actual_access:  write_only
        .address_space:  global
        .offset:         16
        .size:           8
        .value_kind:     global_buffer
      - .actual_access:  write_only
        .address_space:  global
        .offset:         24
        .size:           8
        .value_kind:     global_buffer
    .group_segment_fixed_size: 17472
    .kernarg_segment_align: 8
    .kernarg_segment_size: 32
    .language:       OpenCL C
    .language_version:
      - 2
      - 0
    .max_flat_workgroup_size: 1024
    .name:           _Z6Match3PKfS0_PfPi
    .private_segment_fixed_size: 0
    .sgpr_count:     22
    .sgpr_spill_count: 0
    .symbol:         _Z6Match3PKfS0_PfPi.kd
    .uniform_work_group_size: 1
    .uses_dynamic_stack: false
    .vgpr_count:     29
    .vgpr_spill_count: 0
    .wavefront_size: 32
    .workgroup_processor_mode: 1
  - .args:
      - .actual_access:  read_only
        .address_space:  global
        .offset:         0
        .size:           8
        .value_kind:     global_buffer
      - .actual_access:  read_only
        .address_space:  global
        .offset:         8
        .size:           8
        .value_kind:     global_buffer
      - .actual_access:  write_only
        .address_space:  global
        .offset:         16
        .size:           8
        .value_kind:     global_buffer
      - .actual_access:  write_only
        .address_space:  global
        .offset:         24
        .size:           8
        .value_kind:     global_buffer
    .group_segment_fixed_size: 17664
    .kernarg_segment_align: 8
    .kernarg_segment_size: 32
    .language:       OpenCL C
    .language_version:
      - 2
      - 0
    .max_flat_workgroup_size: 1024
    .name:           _Z6Match4PKfS0_PfPi
    .private_segment_fixed_size: 0
    .sgpr_count:     18
    .sgpr_spill_count: 0
    .symbol:         _Z6Match4PKfS0_PfPi.kd
    .uniform_work_group_size: 1
    .uses_dynamic_stack: false
    .vgpr_count:     29
    .vgpr_spill_count: 0
    .wavefront_size: 32
    .workgroup_processor_mode: 1
  - .args:
      - .actual_access:  read_only
        .address_space:  global
        .offset:         0
        .size:           8
        .value_kind:     global_buffer
      - .actual_access:  read_only
        .address_space:  global
        .offset:         8
        .size:           8
        .value_kind:     global_buffer
      - .actual_access:  write_only
        .address_space:  global
        .offset:         16
        .size:           8
        .value_kind:     global_buffer
      - .actual_access:  write_only
        .address_space:  global
        .offset:         24
        .size:           8
        .value_kind:     global_buffer
    .group_segment_fixed_size: 17664
    .kernarg_segment_align: 8
    .kernarg_segment_size: 32
    .language:       OpenCL C
    .language_version:
      - 2
      - 0
    .max_flat_workgroup_size: 1024
    .name:           _Z6Match5PKfS0_PfPi
    .private_segment_fixed_size: 0
    .sgpr_count:     18
    .sgpr_spill_count: 0
    .symbol:         _Z6Match5PKfS0_PfPi.kd
    .uniform_work_group_size: 1
    .uses_dynamic_stack: false
    .vgpr_count:     55
    .vgpr_spill_count: 0
    .wavefront_size: 32
    .workgroup_processor_mode: 1
  - .args:
      - .actual_access:  read_only
        .address_space:  global
        .offset:         0
        .size:           8
        .value_kind:     global_buffer
      - .actual_access:  read_only
        .address_space:  global
        .offset:         8
        .size:           8
        .value_kind:     global_buffer
      - .actual_access:  write_only
        .address_space:  global
        .offset:         16
        .size:           8
        .value_kind:     global_buffer
      - .actual_access:  write_only
        .address_space:  global
        .offset:         24
        .size:           8
        .value_kind:     global_buffer
    .group_segment_fixed_size: 16640
    .kernarg_segment_align: 8
    .kernarg_segment_size: 32
    .language:       OpenCL C
    .language_version:
      - 2
      - 0
    .max_flat_workgroup_size: 1024
    .name:           _Z6Match6PKfS0_PfPi
    .private_segment_fixed_size: 0
    .sgpr_count:     18
    .sgpr_spill_count: 0
    .symbol:         _Z6Match6PKfS0_PfPi.kd
    .uniform_work_group_size: 1
    .uses_dynamic_stack: false
    .vgpr_count:     55
    .vgpr_spill_count: 0
    .wavefront_size: 32
    .workgroup_processor_mode: 1
  - .args:
      - .actual_access:  read_only
        .address_space:  global
        .offset:         0
        .size:           8
        .value_kind:     global_buffer
      - .actual_access:  read_only
        .address_space:  global
        .offset:         8
        .size:           8
        .value_kind:     global_buffer
      - .actual_access:  write_only
        .address_space:  global
        .offset:         16
        .size:           8
        .value_kind:     global_buffer
      - .actual_access:  write_only
        .address_space:  global
        .offset:         24
        .size:           8
        .value_kind:     global_buffer
    .group_segment_fixed_size: 32768
    .kernarg_segment_align: 8
    .kernarg_segment_size: 32
    .language:       OpenCL C
    .language_version:
      - 2
      - 0
    .max_flat_workgroup_size: 1024
    .name:           _Z6Match7PKfS0_PfPi
    .private_segment_fixed_size: 0
    .sgpr_count:     18
    .sgpr_spill_count: 0
    .symbol:         _Z6Match7PKfS0_PfPi.kd
    .uniform_work_group_size: 1
    .uses_dynamic_stack: false
    .vgpr_count:     57
    .vgpr_spill_count: 0
    .wavefront_size: 32
    .workgroup_processor_mode: 1
  - .args:
      - .actual_access:  read_only
        .address_space:  global
        .offset:         0
        .size:           8
        .value_kind:     global_buffer
      - .actual_access:  read_only
        .address_space:  global
        .offset:         8
        .size:           8
        .value_kind:     global_buffer
      - .actual_access:  write_only
        .address_space:  global
        .offset:         16
        .size:           8
        .value_kind:     global_buffer
      - .actual_access:  write_only
        .address_space:  global
        .offset:         24
        .size:           8
        .value_kind:     global_buffer
    .group_segment_fixed_size: 32768
    .kernarg_segment_align: 8
    .kernarg_segment_size: 32
    .language:       OpenCL C
    .language_version:
      - 2
      - 0
    .max_flat_workgroup_size: 1024
    .name:           _Z6Match8PKfS0_PfPi
    .private_segment_fixed_size: 0
    .sgpr_count:     18
    .sgpr_spill_count: 0
    .symbol:         _Z6Match8PKfS0_PfPi.kd
    .uniform_work_group_size: 1
    .uses_dynamic_stack: false
    .vgpr_count:     49
    .vgpr_spill_count: 0
    .wavefront_size: 32
    .workgroup_processor_mode: 1
  - .args:
      - .actual_access:  read_only
        .address_space:  global
        .offset:         0
        .size:           8
        .value_kind:     global_buffer
      - .actual_access:  read_only
        .address_space:  global
        .offset:         8
        .size:           8
        .value_kind:     global_buffer
      - .actual_access:  write_only
        .address_space:  global
        .offset:         16
        .size:           8
        .value_kind:     global_buffer
      - .actual_access:  write_only
        .address_space:  global
        .offset:         24
        .size:           8
        .value_kind:     global_buffer
    .group_segment_fixed_size: 32768
    .kernarg_segment_align: 8
    .kernarg_segment_size: 32
    .language:       OpenCL C
    .language_version:
      - 2
      - 0
    .max_flat_workgroup_size: 1024
    .name:           _Z6Match9PKfS0_PfPi
    .private_segment_fixed_size: 0
    .sgpr_count:     22
    .sgpr_spill_count: 0
    .symbol:         _Z6Match9PKfS0_PfPi.kd
    .uniform_work_group_size: 1
    .uses_dynamic_stack: false
    .vgpr_count:     62
    .vgpr_spill_count: 0
    .wavefront_size: 32
    .workgroup_processor_mode: 1
  - .args:
      - .actual_access:  read_only
        .address_space:  global
        .offset:         0
        .size:           8
        .value_kind:     global_buffer
      - .actual_access:  read_only
        .address_space:  global
        .offset:         8
        .size:           8
        .value_kind:     global_buffer
      - .actual_access:  write_only
        .address_space:  global
        .offset:         16
        .size:           8
        .value_kind:     global_buffer
      - .actual_access:  write_only
        .address_space:  global
        .offset:         24
        .size:           8
        .value_kind:     global_buffer
    .group_segment_fixed_size: 20480
    .kernarg_segment_align: 8
    .kernarg_segment_size: 32
    .language:       OpenCL C
    .language_version:
      - 2
      - 0
    .max_flat_workgroup_size: 1024
    .name:           _Z7Match10PKfS0_PfPi
    .private_segment_fixed_size: 0
    .sgpr_count:     18
    .sgpr_spill_count: 0
    .symbol:         _Z7Match10PKfS0_PfPi.kd
    .uniform_work_group_size: 1
    .uses_dynamic_stack: false
    .vgpr_count:     91
    .vgpr_spill_count: 0
    .wavefront_size: 32
    .workgroup_processor_mode: 1
amdhsa.target:   amdgcn-amd-amdhsa--gfx1100
amdhsa.version:
  - 1
  - 2
...

	.end_amdgpu_metadata
